;; amdgpu-corpus repo=zjin-lcf/HeCBench kind=compiled arch=gfx1250 opt=O3
	.amdgcn_target "amdgcn-amd-amdhsa--gfx1250"
	.amdhsa_code_object_version 6
	.text
	.protected	_Z6lookupPKiPKdS0_PiS0_S2_PK6WindowPK4Poleiiiiii ; -- Begin function _Z6lookupPKiPKdS0_PiS0_S2_PK6WindowPK4Poleiiiiii
	.globl	_Z6lookupPKiPKdS0_PiS0_S2_PK6WindowPK4Poleiiiiii
	.p2align	8
	.type	_Z6lookupPKiPKdS0_PiS0_S2_PK6WindowPK4Poleiiiiii,@function
_Z6lookupPKiPKdS0_PiS0_S2_PK6WindowPK4Poleiiiiii: ; @_Z6lookupPKiPKdS0_PiS0_S2_PK6WindowPK4Poleiiiiii
; %bb.0:
	s_clause 0x1
	s_load_b32 s8, s[2:3], 0x64
	s_load_b128 s[4:7], s[2:3], 0x40
	s_bfe_u32 s9, ttmp6, 0x4000c
	s_and_b32 s10, ttmp6, 15
	s_add_co_i32 s9, s9, 1
	s_getreg_b32 s11, hwreg(HW_REG_IB_STS2, 6, 4)
	s_mul_i32 s9, ttmp9, s9
	v_and_b32_e32 v1, 0x3ff, v0
	s_add_co_i32 s10, s10, s9
	v_mov_b32_e32 v17, 0
	s_wait_kmcnt 0x0
	s_and_b32 s8, s8, 0xffff
	s_cmp_eq_u32 s11, 0
	s_cselect_b32 s9, ttmp9, s10
	s_delay_alu instid0(SALU_CYCLE_1) | instskip(SKIP_3) | instid1(VALU_DEP_1)
	v_mad_u32 v16, s9, s8, v1
	s_ashr_i32 s9, s4, 31
	s_mov_b32 s8, s4
	s_mov_b32 s4, exec_lo
	v_cmpx_gt_u64_e64 s[8:9], v[16:17]
	s_cbranch_execz .LBB0_104
; %bb.1:
	s_clause 0x3
	s_load_b64 s[24:25], s[2:3], 0x0
	s_load_b64 s[12:13], s[2:3], 0x10
	;; [unrolled: 1-line block ×4, first 2 shown]
	v_mov_b64_e32 v[2:3], 0x45df23cb4a2bcaa7
	s_mov_b32 s4, exec_lo
	v_cmpx_ne_u32_e32 0, v16
	s_cbranch_execz .LBB0_7
; %bb.2:
	v_lshlrev_b64_e32 v[6:7], 1, v[16:17]
	v_mov_b64_e32 v[2:3], 1
	v_mov_b64_e32 v[4:5], 0
	s_mov_b64 s[8:9], 0x26f19d38e48e2825
	s_mov_b32 s18, 0
	s_mov_b64 s[10:11], 1
	s_branch .LBB0_4
.LBB0_3:                                ;   in Loop: Header=BB0_4 Depth=1
	s_or_b32 exec_lo, exec_lo, s19
	v_lshrrev_b64 v[8:9], 1, v[6:7]
	v_cmp_gt_u64_e32 vcc_lo, 2, v[6:7]
	s_add_nc_u64 s[20:21], s[8:9], 1
	s_mul_u64 s[8:9], s[8:9], s[8:9]
	s_mul_u64 s[10:11], s[20:21], s[10:11]
	s_delay_alu instid0(VALU_DEP_2) | instskip(SKIP_1) | instid1(SALU_CYCLE_1)
	v_mov_b64_e32 v[6:7], v[8:9]
	s_or_b32 s18, vcc_lo, s18
	s_and_not1_b32 exec_lo, exec_lo, s18
	s_cbranch_execz .LBB0_6
.LBB0_4:                                ; =>This Inner Loop Header: Depth=1
	s_delay_alu instid0(VALU_DEP_1) | instskip(SKIP_1) | instid1(VALU_DEP_1)
	v_and_b32_e32 v8, 1, v6
	s_mov_b32 s19, exec_lo
	v_cmpx_eq_u32_e32 1, v8
	s_cbranch_execz .LBB0_3
; %bb.5:                                ;   in Loop: Header=BB0_4 Depth=1
	v_mad_nc_u64_u32 v[8:9], s8, v4, s[10:11]
	v_mul_u64_e32 v[2:3], s[8:9], v[2:3]
	s_delay_alu instid0(VALU_DEP_2) | instskip(NEXT) | instid1(VALU_DEP_1)
	v_mad_u32 v4, s9, v4, v9
	v_mad_u32 v9, s8, v5, v4
	s_delay_alu instid0(VALU_DEP_1)
	v_mov_b64_e32 v[4:5], v[8:9]
	s_branch .LBB0_3
.LBB0_6:
	s_or_b32 exec_lo, exec_lo, s18
	v_mad_nc_u64_u32 v[4:5], 0x42e, v2, v[4:5]
	s_delay_alu instid0(VALU_DEP_1) | instskip(NEXT) | instid1(VALU_DEP_2)
	v_mad_u32 v5, 0x42e, v3, v5
	v_mad_nc_u64_u32 v[2:3], 0xe48e2825, v4, 1
	s_delay_alu instid0(VALU_DEP_1) | instskip(NEXT) | instid1(VALU_DEP_1)
	v_mad_u32 v3, 0xe48e2825, v5, v3
	v_mad_u32 v3, 0x26f19d38, v4, v3
	s_delay_alu instid0(VALU_DEP_1)
	v_and_b32_e32 v3, 0x7fffffff, v3
.LBB0_7:
	s_or_b32 exec_lo, exec_lo, s4
	s_delay_alu instid0(VALU_DEP_2)
	v_mad_nc_u64_u32 v[4:5], 0xe48e2825, v2, 1
	s_clause 0x3
	s_load_b64 s[20:21], s[2:3], 0x8
	s_load_b64 s[18:19], s[2:3], 0x18
	s_load_b128 s[8:11], s[2:3], 0x28
	s_load_b64 s[22:23], s[2:3], 0x38
	s_wait_xcnt 0x0
	s_mov_b64 s[2:3], 0x3faa9fbe76c8b439
	s_delay_alu instid0(VALU_DEP_1) | instskip(NEXT) | instid1(VALU_DEP_1)
	v_mad_u32 v5, 0xe48e2825, v3, v5
	v_mad_u32 v5, 0x26f19d38, v2, v5
	s_delay_alu instid0(VALU_DEP_1) | instskip(NEXT) | instid1(VALU_DEP_1)
	v_and_b32_e32 v5, 0x7fffffff, v5
	v_cvt_f64_u32_e32 v[6:7], v5
	v_cvt_f64_u32_e32 v[4:5], v4
	s_delay_alu instid0(VALU_DEP_2) | instskip(NEXT) | instid1(VALU_DEP_1)
	v_ldexp_f64 v[6:7], v[6:7], 32
	v_dual_add_f64 v[4:5], v[6:7], v[4:5] :: v_dual_mov_b32 v6, 1
	s_delay_alu instid0(VALU_DEP_1) | instskip(NEXT) | instid1(VALU_DEP_1)
	v_ldexp_f64 v[4:5], v[4:5], 0xffffffc1
	v_cmp_ngt_f64_e32 vcc_lo, s[2:3], v[4:5]
	s_and_saveexec_b32 s2, vcc_lo
	s_cbranch_execz .LBB0_29
; %bb.8:
	v_mov_b32_e32 v6, 2
	s_mov_b64 s[26:27], 0x3fd4ed916872b021
	s_mov_b32 s3, exec_lo
	v_cmpx_ngt_f64_e32 s[26:27], v[4:5]
	s_cbranch_execz .LBB0_28
; %bb.9:
	v_mov_b32_e32 v6, 3
	s_mov_b64 s[26:27], 0x3fdd810624dd2f1b
	s_mov_b32 s4, exec_lo
	v_cmpx_ngt_f64_e32 s[26:27], v[4:5]
	s_cbranch_execz .LBB0_27
; %bb.10:
	s_mov_b64 s[26:27], 0x3fe3ae147ae147af
	v_mov_b32_e32 v6, 4
	v_cmp_ngt_f64_e32 vcc_lo, s[26:27], v[4:5]
	s_and_saveexec_b32 s26, vcc_lo
	s_cbranch_execz .LBB0_26
; %bb.11:
	v_mov_b32_e32 v6, 5
	s_mov_b64 s[28:29], 0x3fe5ba5e353f7cee
	s_mov_b32 s27, exec_lo
	v_cmpx_ngt_f64_e32 s[28:29], v[4:5]
	s_cbranch_execz .LBB0_25
; %bb.12:
	s_mov_b64 s[28:29], 0x3fe7d70a3d70a3d8
	v_mov_b32_e32 v6, 6
	v_cmp_ngt_f64_e32 vcc_lo, s[28:29], v[4:5]
	s_and_saveexec_b32 s28, vcc_lo
	;; [unrolled: 12-line block ×3, first 2 shown]
	s_cbranch_execz .LBB0_22
; %bb.15:
	v_mov_b32_e32 v6, 9
	s_mov_b64 s[34:35], 0x3fea5604189374bd
	s_mov_b32 s31, exec_lo
	v_cmpx_ngt_f64_e32 s[34:35], v[4:5]
	s_cbranch_execz .LBB0_21
; %bb.16:
	v_mov_b32_e32 v6, 10
	s_mov_b64 s[34:35], 0x3feb22d0e560418a
	s_mov_b32 s33, exec_lo
	v_cmpx_ngt_f64_e32 s[34:35], v[4:5]
	s_cbranch_execz .LBB0_20
; %bb.17:
	s_mov_b64 s[34:35], 0x3feb8d4fdf3b645b
	v_mov_b32_e32 v6, 11
	v_cmp_ngt_f64_e32 vcc_lo, s[34:35], v[4:5]
	s_and_saveexec_b32 s34, vcc_lo
; %bb.18:
	v_mov_b32_e32 v6, 0
; %bb.19:
	s_or_b32 exec_lo, exec_lo, s34
.LBB0_20:
	s_delay_alu instid0(SALU_CYCLE_1)
	s_or_b32 exec_lo, exec_lo, s33
.LBB0_21:
	s_delay_alu instid0(SALU_CYCLE_1)
	s_or_b32 exec_lo, exec_lo, s31
.LBB0_22:
	s_delay_alu instid0(SALU_CYCLE_1)
	s_or_b32 exec_lo, exec_lo, s30
.LBB0_23:
	s_delay_alu instid0(SALU_CYCLE_1)
	s_or_b32 exec_lo, exec_lo, s29
.LBB0_24:
	s_delay_alu instid0(SALU_CYCLE_1)
	s_or_b32 exec_lo, exec_lo, s28
.LBB0_25:
	s_delay_alu instid0(SALU_CYCLE_1)
	s_or_b32 exec_lo, exec_lo, s27
.LBB0_26:
	s_delay_alu instid0(SALU_CYCLE_1)
	s_or_b32 exec_lo, exec_lo, s26
.LBB0_27:
	s_delay_alu instid0(SALU_CYCLE_1)
	s_or_b32 exec_lo, exec_lo, s4
.LBB0_28:
	s_delay_alu instid0(SALU_CYCLE_1)
	s_or_b32 exec_lo, exec_lo, s3
.LBB0_29:
	s_delay_alu instid0(SALU_CYCLE_1)
	s_or_b32 exec_lo, exec_lo, s2
	s_wait_kmcnt 0x0
	global_load_b32 v82, v6, s[24:25] scale_offset
	v_mov_b64_e32 v[20:21], 0
	v_mov_b64_e32 v[26:27], 0
	;; [unrolled: 1-line block ×4, first 2 shown]
	s_mov_b32 s33, 0
	s_mov_b32 s4, exec_lo
	s_wait_loadcnt 0x0
	v_cmpx_lt_i32_e32 0, v82
	s_cbranch_execz .LBB0_103
; %bb.30:
	v_cvt_f64_u32_e32 v[4:5], v3
	v_cvt_f64_u32_e32 v[2:3], v2
	s_load_b64 s[2:3], s[0:1], 0x4
	v_bfe_u32 v7, v0, 10, 10
	v_mul_lo_u32 v83, v6, s17
	v_bfe_u32 v0, v0, 20, 10
	v_mov_b64_e32 v[20:21], 0
	v_mov_b64_e32 v[24:25], 0xbf23e260bd3237f4
	;; [unrolled: 1-line block ×7, first 2 shown]
	s_mov_b64 s[24:25], 0x3ffaf154eeb562d6
	s_mov_b64 s[26:27], 0x3fedd9ad336a0500
	s_mov_b64 s[28:29], 0x3ff921fb54442d18
	s_mov_b64 s[30:31], 0x3fe45f306dc9c883
	s_mov_b64 s[34:35], 0xbff921fb54442d18
	s_mov_b32 s17, 0
	v_mov_b32_e32 v38, 0
	s_wait_kmcnt 0x0
	v_mul_u32_u24_e32 v6, s3, v7
	s_lshr_b32 s0, s2, 16
	s_cmp_lg_u32 s5, 1
	s_mul_i32 s0, s0, s3
	s_cselect_b32 s5, -1, 0
	v_mad_u32 v1, s0, v1, v6
	v_ldexp_f64 v[4:5], v[4:5], 32
	s_delay_alu instid0(VALU_DEP_2) | instskip(NEXT) | instid1(VALU_DEP_2)
	v_add_lshl_u32 v84, v1, v0, 6
                                        ; implicit-def: $vgpr0_vgpr1
                                        ; implicit-def: $vgpr0_vgpr1
	;; [unrolled: 1-line block ×25, first 2 shown]
	v_add_f64_e32 v[2:3], v[4:5], v[2:3]
	s_delay_alu instid0(VALU_DEP_1) | instskip(NEXT) | instid1(VALU_DEP_1)
	v_ldexp_f64 v[18:19], v[2:3], 0xffffffc1
	v_cmp_gt_f64_e32 vcc_lo, 0x10000000, v[18:19]
	v_mul_f64_e32 v[22:23], v[18:19], v[18:19]
	v_cndmask_b32_e64 v2, 0, 0x100, vcc_lo
	s_delay_alu instid0(VALU_DEP_1) | instskip(NEXT) | instid1(VALU_DEP_1)
	v_ldexp_f64 v[2:3], v[18:19], v2
	v_rsq_f64_e32 v[4:5], v[2:3]
	v_nop
	s_delay_alu instid0(TRANS32_DEP_1) | instskip(SKIP_1) | instid1(VALU_DEP_1)
	v_mul_f64_e32 v[8:9], v[2:3], v[4:5]
	v_mul_f64_e32 v[4:5], 0.5, v[4:5]
	v_fma_f64 v[10:11], -v[4:5], v[8:9], 0.5
	s_delay_alu instid0(VALU_DEP_1) | instskip(SKIP_1) | instid1(VALU_DEP_2)
	v_fmac_f64_e32 v[8:9], v[8:9], v[10:11]
	v_fmac_f64_e32 v[4:5], v[4:5], v[10:11]
	v_fma_f64 v[10:11], -v[8:9], v[8:9], v[2:3]
	s_delay_alu instid0(VALU_DEP_1) | instskip(NEXT) | instid1(VALU_DEP_1)
	v_fmac_f64_e32 v[8:9], v[10:11], v[4:5]
	v_fma_f64 v[10:11], -v[8:9], v[8:9], v[2:3]
	s_delay_alu instid0(VALU_DEP_1) | instskip(SKIP_2) | instid1(VALU_DEP_2)
	v_fmac_f64_e32 v[8:9], v[10:11], v[4:5]
	v_cndmask_b32_e64 v4, 0, 0xffffff80, vcc_lo
	v_cmp_class_f64_e64 vcc_lo, v[2:3], 0x260
	v_ldexp_f64 v[4:5], v[8:9], v4
	s_delay_alu instid0(VALU_DEP_1) | instskip(NEXT) | instid1(VALU_DEP_2)
	v_dual_cndmask_b32 v36, v4, v2 :: v_dual_add_nc_u32 v85, 0x10000, v84
	v_cndmask_b32_e32 v37, v5, v3, vcc_lo
	s_branch .LBB0_34
.LBB0_31:                               ;   in Loop: Header=BB0_34 Depth=1
	s_or_b32 exec_lo, exec_lo, s37
.LBB0_32:                               ;   in Loop: Header=BB0_34 Depth=1
	s_delay_alu instid0(SALU_CYCLE_1) | instskip(NEXT) | instid1(VALU_DEP_1)
	s_or_b32 exec_lo, exec_lo, s36
	v_add_f64_e64 v[2:3], v[44:45], -v[42:43]
.LBB0_33:                               ;   in Loop: Header=BB0_34 Depth=1
	s_wait_xcnt 0x0
	v_ashrrev_i32_e32 v41, 31, v40
	s_add_co_i32 s17, s17, 1
	s_delay_alu instid0(SALU_CYCLE_1) | instskip(NEXT) | instid1(VALU_DEP_2)
	v_cmp_eq_u32_e32 vcc_lo, s17, v82
	v_lshl_add_u64 v[4:5], v[40:41], 3, s[20:21]
	s_or_b32 s33, vcc_lo, s33
	global_load_b64 v[4:5], v[4:5], off
	s_wait_loadcnt 0x0
	v_fmac_f64_e32 v[30:31], v[44:45], v[4:5]
	v_fmac_f64_e32 v[28:29], v[42:43], v[4:5]
	;; [unrolled: 1-line block ×4, first 2 shown]
	s_wait_xcnt 0x0
	s_and_not1_b32 exec_lo, exec_lo, s33
	s_cbranch_execz .LBB0_102
.LBB0_34:                               ; =>This Loop Header: Depth=1
                                        ;     Child Loop BB0_37 Depth 2
                                        ;     Child Loop BB0_59 Depth 2
	;; [unrolled: 1-line block ×4, first 2 shown]
                                        ;       Child Loop BB0_100 Depth 3
	v_add_nc_u32_e32 v40, s17, v83
	s_mov_b32 s0, -1
                                        ; implicit-def: $vgpr42_vgpr43
                                        ; implicit-def: $vgpr44_vgpr45
	global_load_b32 v41, v40, s[12:13] scale_offset
	s_wait_loadcnt 0x0
	global_load_b32 v46, v41, s[14:15] scale_offset
	s_wait_loadcnt 0x0
	v_cvt_f64_i32_e32 v[0:1], v46
	s_delay_alu instid0(VALU_DEP_1) | instskip(SKIP_1) | instid1(VALU_DEP_2)
	v_div_scale_f64 v[2:3], null, v[0:1], v[0:1], 1.0
	v_div_scale_f64 v[8:9], vcc_lo, 1.0, v[0:1], 1.0
	v_rcp_f64_e32 v[4:5], v[2:3]
	v_nop
	s_delay_alu instid0(TRANS32_DEP_1) | instskip(NEXT) | instid1(VALU_DEP_1)
	v_fma_f64 v[6:7], -v[2:3], v[4:5], 1.0
	v_fmac_f64_e32 v[4:5], v[4:5], v[6:7]
	s_delay_alu instid0(VALU_DEP_1) | instskip(NEXT) | instid1(VALU_DEP_1)
	v_fma_f64 v[6:7], -v[2:3], v[4:5], 1.0
	v_fmac_f64_e32 v[4:5], v[4:5], v[6:7]
	s_delay_alu instid0(VALU_DEP_1) | instskip(NEXT) | instid1(VALU_DEP_1)
	v_mul_f64_e32 v[6:7], v[8:9], v[4:5]
	v_fma_f64 v[2:3], -v[2:3], v[6:7], v[8:9]
	s_delay_alu instid0(VALU_DEP_1) | instskip(NEXT) | instid1(VALU_DEP_1)
	v_div_fmas_f64 v[2:3], v[2:3], v[4:5], v[6:7]
	v_div_fixup_f64 v[0:1], v[2:3], v[0:1], 1.0
	s_delay_alu instid0(VALU_DEP_1) | instskip(NEXT) | instid1(VALU_DEP_1)
	v_div_scale_f64 v[2:3], null, v[0:1], v[0:1], v[18:19]
	v_rcp_f64_e32 v[4:5], v[2:3]
	v_nop
	s_delay_alu instid0(TRANS32_DEP_1) | instskip(NEXT) | instid1(VALU_DEP_1)
	v_fma_f64 v[6:7], -v[2:3], v[4:5], 1.0
	v_fmac_f64_e32 v[4:5], v[4:5], v[6:7]
	s_delay_alu instid0(VALU_DEP_1) | instskip(NEXT) | instid1(VALU_DEP_1)
	v_fma_f64 v[6:7], -v[2:3], v[4:5], 1.0
	v_fmac_f64_e32 v[4:5], v[4:5], v[6:7]
	v_div_scale_f64 v[6:7], vcc_lo, v[18:19], v[0:1], v[18:19]
	s_delay_alu instid0(VALU_DEP_1) | instskip(NEXT) | instid1(VALU_DEP_1)
	v_mul_f64_e32 v[8:9], v[6:7], v[4:5]
	v_fma_f64 v[2:3], -v[2:3], v[8:9], v[6:7]
	s_delay_alu instid0(VALU_DEP_1) | instskip(SKIP_2) | instid1(VALU_DEP_1)
	v_div_fmas_f64 v[2:3], v[2:3], v[4:5], v[8:9]
	v_mul_lo_u32 v8, v41, s6
	s_and_b32 vcc_lo, exec_lo, s5
	v_ashrrev_i32_e32 v9, 31, v8
	s_delay_alu instid0(VALU_DEP_3) | instskip(NEXT) | instid1(VALU_DEP_1)
	v_div_fixup_f64 v[0:1], v[2:3], v[0:1], v[18:19]
                                        ; implicit-def: $vgpr2_vgpr3
	v_cvt_i32_f64_e32 v47, v[0:1]
                                        ; implicit-def: $vgpr0_vgpr1
	s_cbranch_vccz .LBB0_62
; %bb.35:                               ;   in Loop: Header=BB0_34 Depth=1
	s_delay_alu instid0(VALU_DEP_3)
	v_lshl_add_u64 v[0:1], v[8:9], 3, s[8:9]
	v_mov_b32_e32 v48, v85
	s_mov_b32 s1, 0
	s_branch .LBB0_37
.LBB0_36:                               ;   in Loop: Header=BB0_37 Depth=2
	s_or_b32 exec_lo, exec_lo, s0
	v_mul_f64_e32 v[4:5], v[42:43], v[42:43]
	s_delay_alu instid0(VALU_DEP_2) | instskip(SKIP_4) | instid1(VALU_DEP_1)
	v_mul_f64_e32 v[12:13], 0.5, v[44:45]
	v_add_nc_u64_e32 v[0:1], 8, v[0:1]
	s_add_co_i32 s1, s1, 1
	v_and_b32_e32 v2, 1, v50
	s_cmp_lg_u32 s1, 4
	v_cmp_eq_u32_e64 s0, 0, v2
	v_mul_f64_e32 v[6:7], 0.5, v[4:5]
	v_mul_f64_e64 v[14:15], v[42:43], -v[4:5]
	v_fmamk_f64 v[54:55], v[4:5], 0x3de5e0b2f9a43bb8, v[34:35]
	s_delay_alu instid0(VALU_DEP_1) | instskip(NEXT) | instid1(VALU_DEP_1)
	v_fmaak_f64 v[54:55], v[4:5], v[54:55], 0x3ec71de3796cde01
	v_fmaak_f64 v[54:55], v[4:5], v[54:55], 0xbf2a01a019e83e5c
	s_delay_alu instid0(VALU_DEP_1) | instskip(SKIP_1) | instid1(VALU_DEP_2)
	v_fmaak_f64 v[54:55], v[4:5], v[54:55], 0x3f81111111110bb3
	v_add_f64_e64 v[10:11], -v[6:7], 1.0
	v_fmac_f64_e32 v[12:13], v[14:15], v[54:55]
	v_mul_f64_e32 v[54:55], v[4:5], v[4:5]
	s_delay_alu instid0(VALU_DEP_3) | instskip(NEXT) | instid1(VALU_DEP_3)
	v_add_f64_e64 v[52:53], -v[10:11], 1.0
	v_fma_f64 v[12:13], v[4:5], v[12:13], -v[44:45]
	s_delay_alu instid0(VALU_DEP_2) | instskip(SKIP_1) | instid1(VALU_DEP_3)
	v_add_f64_e64 v[6:7], v[52:53], -v[6:7]
	v_fmamk_f64 v[52:53], v[4:5], 0xbda907db46cc5e42, v[32:33]
	v_fmac_f64_e32 v[12:13], 0xbfc5555555555555, v[14:15]
	s_delay_alu instid0(VALU_DEP_3) | instskip(NEXT) | instid1(VALU_DEP_3)
	v_fma_f64 v[6:7], v[42:43], -v[44:45], v[6:7]
	v_fmaak_f64 v[44:45], v[4:5], v[52:53], 0xbe927e4fa17f65f6
	s_delay_alu instid0(VALU_DEP_1) | instskip(NEXT) | instid1(VALU_DEP_1)
	v_fmaak_f64 v[44:45], v[4:5], v[44:45], 0x3efa01a019f4ec90
	v_fmaak_f64 v[44:45], v[4:5], v[44:45], 0xbf56c16c16c16967
	s_delay_alu instid0(VALU_DEP_1) | instskip(NEXT) | instid1(VALU_DEP_1)
	v_fmaak_f64 v[4:5], v[4:5], v[44:45], 0x3fa5555555555555
	v_fmac_f64_e32 v[6:7], v[54:55], v[4:5]
	v_add_f64_e64 v[4:5], v[42:43], -v[12:13]
	s_delay_alu instid0(VALU_DEP_2) | instskip(SKIP_1) | instid1(VALU_DEP_1)
	v_add_f64_e32 v[6:7], v[10:11], v[6:7]
	v_lshlrev_b32_e32 v10, 30, v50
	v_xor_b32_e32 v2, v10, v3
	s_delay_alu instid0(VALU_DEP_3) | instskip(NEXT) | instid1(VALU_DEP_1)
	v_dual_cndmask_b32 v3, v6, v4, s0 :: v_dual_cndmask_b32 v4, v7, v5, s0
	v_bitop3_b32 v4, v4, v2, 0x80000000 bitop3:0x78
	s_delay_alu instid0(VALU_DEP_2) | instskip(NEXT) | instid1(VALU_DEP_2)
	v_cndmask_b32_e32 v2, 0, v3, vcc_lo
	v_cndmask_b32_e64 v3, 0xfff80000, -v4, vcc_lo
	ds_store_b64 v48, v[2:3] offset:8
	v_add_nc_u32_e32 v48, 16, v48
	s_cbranch_scc0 .LBB0_57
.LBB0_37:                               ;   Parent Loop BB0_34 Depth=1
                                        ; =>  This Inner Loop Header: Depth=2
	global_load_b64 v[2:3], v[0:1], off
	s_cmp_lt_i32 s1, 2
	s_mov_b32 s0, -1
                                        ; implicit-def: $vgpr4_vgpr5
	s_wait_loadcnt 0x0
	v_mul_f64_e32 v[2:3], v[36:37], v[2:3]
	s_cbranch_scc1 .LBB0_45
; %bb.38:                               ;   in Loop: Header=BB0_37 Depth=2
	s_cmp_lt_i32 s1, 3
                                        ; implicit-def: $vgpr4_vgpr5
	s_cbranch_scc1 .LBB0_42
; %bb.39:                               ;   in Loop: Header=BB0_37 Depth=2
	s_delay_alu instid0(VALU_DEP_1)
	v_mov_b64_e32 v[4:5], v[2:3]
	s_cmp_eq_u32 s1, 3
	s_cbranch_scc0 .LBB0_41
; %bb.40:                               ;   in Loop: Header=BB0_37 Depth=2
	v_fma_f64 v[4:5], -v[2:3], v[2:3], 0x402e0000
	v_mul_f64_e32 v[6:7], 0xc0180000, v[2:3]
	s_delay_alu instid0(VALU_DEP_2) | instskip(NEXT) | instid1(VALU_DEP_2)
	v_mul_f64_e32 v[4:5], v[2:3], v[4:5]
	v_fmaak_f64 v[6:7], v[2:3], v[6:7], 0x402e0000
	s_delay_alu instid0(VALU_DEP_1) | instskip(SKIP_1) | instid1(VALU_DEP_2)
	v_div_scale_f64 v[10:11], null, v[6:7], v[6:7], v[4:5]
	v_div_scale_f64 v[42:43], vcc_lo, v[4:5], v[6:7], v[4:5]
	v_rcp_f64_e32 v[12:13], v[10:11]
	v_nop
	s_delay_alu instid0(TRANS32_DEP_1) | instskip(NEXT) | instid1(VALU_DEP_1)
	v_fma_f64 v[14:15], -v[10:11], v[12:13], 1.0
	v_fmac_f64_e32 v[12:13], v[12:13], v[14:15]
	s_delay_alu instid0(VALU_DEP_1) | instskip(NEXT) | instid1(VALU_DEP_1)
	v_fma_f64 v[14:15], -v[10:11], v[12:13], 1.0
	v_fmac_f64_e32 v[12:13], v[12:13], v[14:15]
	s_delay_alu instid0(VALU_DEP_1) | instskip(NEXT) | instid1(VALU_DEP_1)
	v_mul_f64_e32 v[14:15], v[42:43], v[12:13]
	v_fma_f64 v[10:11], -v[10:11], v[14:15], v[42:43]
	s_delay_alu instid0(VALU_DEP_1) | instskip(NEXT) | instid1(VALU_DEP_1)
	v_div_fmas_f64 v[10:11], v[10:11], v[12:13], v[14:15]
	v_div_fixup_f64 v[4:5], v[10:11], v[6:7], v[4:5]
	s_delay_alu instid0(VALU_DEP_1) | instskip(NEXT) | instid1(VALU_DEP_2)
	v_and_b32_e32 v7, 0x7fffffff, v5
	v_mov_b32_e32 v6, v4
	s_delay_alu instid0(VALU_DEP_1) | instskip(SKIP_1) | instid1(VALU_DEP_2)
	v_div_scale_f64 v[10:11], null, v[6:7], v[6:7], 1.0
	v_div_scale_f64 v[42:43], vcc_lo, 1.0, v[6:7], 1.0
	v_rcp_f64_e32 v[12:13], v[10:11]
	v_nop
	s_delay_alu instid0(TRANS32_DEP_1) | instskip(NEXT) | instid1(VALU_DEP_1)
	v_fma_f64 v[14:15], -v[10:11], v[12:13], 1.0
	v_fmac_f64_e32 v[12:13], v[12:13], v[14:15]
	s_delay_alu instid0(VALU_DEP_1) | instskip(NEXT) | instid1(VALU_DEP_1)
	v_fma_f64 v[14:15], -v[10:11], v[12:13], 1.0
	v_fmac_f64_e32 v[12:13], v[12:13], v[14:15]
	s_delay_alu instid0(VALU_DEP_1) | instskip(NEXT) | instid1(VALU_DEP_1)
	v_mul_f64_e32 v[14:15], v[42:43], v[12:13]
	v_fma_f64 v[10:11], -v[10:11], v[14:15], v[42:43]
	s_delay_alu instid0(VALU_DEP_1) | instskip(SKIP_1) | instid1(VALU_DEP_2)
	v_div_fmas_f64 v[10:11], v[10:11], v[12:13], v[14:15]
	v_cmp_gt_f64_e64 vcc_lo, |v[4:5]|, 1.0
	v_div_fixup_f64 v[10:11], v[10:11], |v[4:5]|, 1.0
	s_delay_alu instid0(VALU_DEP_1) | instskip(NEXT) | instid1(VALU_DEP_1)
	v_dual_cndmask_b32 v7, v7, v11 :: v_dual_cndmask_b32 v6, v4, v10
	v_mul_f64_e32 v[10:11], v[6:7], v[6:7]
	s_delay_alu instid0(VALU_DEP_1) | instskip(NEXT) | instid1(VALU_DEP_1)
	v_fmamk_f64 v[12:13], v[10:11], 0x3eeba404b5e68a13, v[24:25]
	v_fmaak_f64 v[12:13], v[10:11], v[12:13], 0x3f4b2bb069efb384
	s_delay_alu instid0(VALU_DEP_1) | instskip(NEXT) | instid1(VALU_DEP_1)
	v_fmaak_f64 v[12:13], v[10:11], v[12:13], 0xbf67952daf56de9b
	v_fmaak_f64 v[12:13], v[10:11], v[12:13], 0x3f7d6d43a595c56f
	s_delay_alu instid0(VALU_DEP_1) | instskip(NEXT) | instid1(VALU_DEP_1)
	v_fmaak_f64 v[12:13], v[10:11], v[12:13], 0xbf8c6ea4a57d9582
	;; [unrolled: 3-line block ×9, first 2 shown]
	v_mul_f64_e32 v[10:11], v[10:11], v[12:13]
	s_delay_alu instid0(VALU_DEP_1) | instskip(NEXT) | instid1(VALU_DEP_1)
	v_fmac_f64_e32 v[6:7], v[6:7], v[10:11]
	v_fma_f64 v[10:11], s[26:27], s[24:25], -v[6:7]
	s_delay_alu instid0(VALU_DEP_1) | instskip(NEXT) | instid1(VALU_DEP_1)
	v_dual_cndmask_b32 v7, v7, v11 :: v_dual_cndmask_b32 v4, v6, v10
	v_bfi_b32 v5, 0x7fffffff, v7, v5
	s_delay_alu instid0(VALU_DEP_1)
	v_add_f64_e64 v[4:5], v[2:3], -v[4:5]
.LBB0_41:                               ;   in Loop: Header=BB0_37 Depth=2
	s_mov_b32 s0, 0
.LBB0_42:                               ;   in Loop: Header=BB0_37 Depth=2
	s_delay_alu instid0(SALU_CYCLE_1)
	s_and_not1_b32 vcc_lo, exec_lo, s0
	s_cbranch_vccnz .LBB0_44
; %bb.43:                               ;   in Loop: Header=BB0_37 Depth=2
	s_delay_alu instid0(VALU_DEP_1) | instskip(SKIP_1) | instid1(VALU_DEP_1)
	v_mul_f64_e32 v[4:5], 0x40080000, v[2:3]
	v_fma_f64 v[6:7], -v[2:3], v[2:3], 0x40080000
	v_div_scale_f64 v[10:11], null, v[6:7], v[6:7], v[4:5]
	v_div_scale_f64 v[42:43], vcc_lo, v[4:5], v[6:7], v[4:5]
	s_delay_alu instid0(VALU_DEP_2) | instskip(SKIP_1) | instid1(TRANS32_DEP_1)
	v_rcp_f64_e32 v[12:13], v[10:11]
	v_nop
	v_fma_f64 v[14:15], -v[10:11], v[12:13], 1.0
	s_delay_alu instid0(VALU_DEP_1) | instskip(NEXT) | instid1(VALU_DEP_1)
	v_fmac_f64_e32 v[12:13], v[12:13], v[14:15]
	v_fma_f64 v[14:15], -v[10:11], v[12:13], 1.0
	s_delay_alu instid0(VALU_DEP_1) | instskip(NEXT) | instid1(VALU_DEP_1)
	v_fmac_f64_e32 v[12:13], v[12:13], v[14:15]
	v_mul_f64_e32 v[14:15], v[42:43], v[12:13]
	s_delay_alu instid0(VALU_DEP_1) | instskip(NEXT) | instid1(VALU_DEP_1)
	v_fma_f64 v[10:11], -v[10:11], v[14:15], v[42:43]
	v_div_fmas_f64 v[10:11], v[10:11], v[12:13], v[14:15]
	s_delay_alu instid0(VALU_DEP_1) | instskip(NEXT) | instid1(VALU_DEP_1)
	v_div_fixup_f64 v[4:5], v[10:11], v[6:7], v[4:5]
	v_and_b32_e32 v7, 0x7fffffff, v5
	s_delay_alu instid0(VALU_DEP_2) | instskip(NEXT) | instid1(VALU_DEP_1)
	v_mov_b32_e32 v6, v4
	v_div_scale_f64 v[10:11], null, v[6:7], v[6:7], 1.0
	v_div_scale_f64 v[42:43], vcc_lo, 1.0, v[6:7], 1.0
	s_delay_alu instid0(VALU_DEP_2) | instskip(SKIP_1) | instid1(TRANS32_DEP_1)
	v_rcp_f64_e32 v[12:13], v[10:11]
	v_nop
	v_fma_f64 v[14:15], -v[10:11], v[12:13], 1.0
	s_delay_alu instid0(VALU_DEP_1) | instskip(NEXT) | instid1(VALU_DEP_1)
	v_fmac_f64_e32 v[12:13], v[12:13], v[14:15]
	v_fma_f64 v[14:15], -v[10:11], v[12:13], 1.0
	s_delay_alu instid0(VALU_DEP_1) | instskip(NEXT) | instid1(VALU_DEP_1)
	v_fmac_f64_e32 v[12:13], v[12:13], v[14:15]
	v_mul_f64_e32 v[14:15], v[42:43], v[12:13]
	s_delay_alu instid0(VALU_DEP_1) | instskip(NEXT) | instid1(VALU_DEP_1)
	v_fma_f64 v[10:11], -v[10:11], v[14:15], v[42:43]
	v_div_fmas_f64 v[10:11], v[10:11], v[12:13], v[14:15]
	v_cmp_gt_f64_e64 vcc_lo, |v[4:5]|, 1.0
	s_delay_alu instid0(VALU_DEP_2) | instskip(NEXT) | instid1(VALU_DEP_1)
	v_div_fixup_f64 v[10:11], v[10:11], |v[4:5]|, 1.0
	v_dual_cndmask_b32 v7, v7, v11 :: v_dual_cndmask_b32 v6, v4, v10
	s_delay_alu instid0(VALU_DEP_1) | instskip(NEXT) | instid1(VALU_DEP_1)
	v_mul_f64_e32 v[10:11], v[6:7], v[6:7]
	v_fmamk_f64 v[12:13], v[10:11], 0x3eeba404b5e68a13, v[24:25]
	s_delay_alu instid0(VALU_DEP_1) | instskip(NEXT) | instid1(VALU_DEP_1)
	v_fmaak_f64 v[12:13], v[10:11], v[12:13], 0x3f4b2bb069efb384
	v_fmaak_f64 v[12:13], v[10:11], v[12:13], 0xbf67952daf56de9b
	s_delay_alu instid0(VALU_DEP_1) | instskip(NEXT) | instid1(VALU_DEP_1)
	v_fmaak_f64 v[12:13], v[10:11], v[12:13], 0x3f7d6d43a595c56f
	v_fmaak_f64 v[12:13], v[10:11], v[12:13], 0xbf8c6ea4a57d9582
	;; [unrolled: 3-line block ×9, first 2 shown]
	s_delay_alu instid0(VALU_DEP_1) | instskip(NEXT) | instid1(VALU_DEP_1)
	v_mul_f64_e32 v[10:11], v[10:11], v[12:13]
	v_fmac_f64_e32 v[6:7], v[6:7], v[10:11]
	s_delay_alu instid0(VALU_DEP_1) | instskip(NEXT) | instid1(VALU_DEP_1)
	v_fma_f64 v[10:11], s[26:27], s[24:25], -v[6:7]
	v_dual_cndmask_b32 v7, v7, v11 :: v_dual_cndmask_b32 v4, v6, v10
	s_delay_alu instid0(VALU_DEP_1) | instskip(NEXT) | instid1(VALU_DEP_1)
	v_bfi_b32 v5, 0x7fffffff, v7, v5
	v_add_f64_e64 v[4:5], v[2:3], -v[4:5]
.LBB0_44:                               ;   in Loop: Header=BB0_37 Depth=2
	s_mov_b32 s0, 0
.LBB0_45:                               ;   in Loop: Header=BB0_37 Depth=2
	s_delay_alu instid0(SALU_CYCLE_1)
	s_and_not1_b32 vcc_lo, exec_lo, s0
	s_cbranch_vccnz .LBB0_49
; %bb.46:                               ;   in Loop: Header=BB0_37 Depth=2
	s_cmp_lg_u32 s1, 1
	s_cbranch_scc1 .LBB0_48
; %bb.47:                               ;   in Loop: Header=BB0_37 Depth=2
	s_delay_alu instid0(VALU_DEP_1) | instskip(NEXT) | instid1(VALU_DEP_2)
	v_and_b32_e32 v5, 0x7fffffff, v3
	v_mov_b32_e32 v4, v2
	s_delay_alu instid0(VALU_DEP_1) | instskip(SKIP_1) | instid1(VALU_DEP_2)
	v_div_scale_f64 v[6:7], null, v[4:5], v[4:5], 1.0
	v_div_scale_f64 v[14:15], vcc_lo, 1.0, v[4:5], 1.0
	v_rcp_f64_e32 v[10:11], v[6:7]
	v_nop
	s_delay_alu instid0(TRANS32_DEP_1) | instskip(NEXT) | instid1(VALU_DEP_1)
	v_fma_f64 v[12:13], -v[6:7], v[10:11], 1.0
	v_fmac_f64_e32 v[10:11], v[10:11], v[12:13]
	s_delay_alu instid0(VALU_DEP_1) | instskip(NEXT) | instid1(VALU_DEP_1)
	v_fma_f64 v[12:13], -v[6:7], v[10:11], 1.0
	v_fmac_f64_e32 v[10:11], v[10:11], v[12:13]
	s_delay_alu instid0(VALU_DEP_1) | instskip(NEXT) | instid1(VALU_DEP_1)
	v_mul_f64_e32 v[12:13], v[14:15], v[10:11]
	v_fma_f64 v[6:7], -v[6:7], v[12:13], v[14:15]
	s_delay_alu instid0(VALU_DEP_1) | instskip(SKIP_1) | instid1(VALU_DEP_2)
	v_div_fmas_f64 v[6:7], v[6:7], v[10:11], v[12:13]
	v_cmp_gt_f64_e64 vcc_lo, |v[2:3]|, 1.0
	v_div_fixup_f64 v[6:7], v[6:7], |v[2:3]|, 1.0
	s_delay_alu instid0(VALU_DEP_1) | instskip(NEXT) | instid1(VALU_DEP_1)
	v_dual_cndmask_b32 v5, v5, v7 :: v_dual_cndmask_b32 v4, v2, v6
	v_mul_f64_e32 v[6:7], v[4:5], v[4:5]
	s_delay_alu instid0(VALU_DEP_1) | instskip(NEXT) | instid1(VALU_DEP_1)
	v_fmamk_f64 v[10:11], v[6:7], 0x3eeba404b5e68a13, v[24:25]
	v_fmaak_f64 v[10:11], v[6:7], v[10:11], 0x3f4b2bb069efb384
	s_delay_alu instid0(VALU_DEP_1) | instskip(NEXT) | instid1(VALU_DEP_1)
	v_fmaak_f64 v[10:11], v[6:7], v[10:11], 0xbf67952daf56de9b
	v_fmaak_f64 v[10:11], v[6:7], v[10:11], 0x3f7d6d43a595c56f
	s_delay_alu instid0(VALU_DEP_1) | instskip(NEXT) | instid1(VALU_DEP_1)
	v_fmaak_f64 v[10:11], v[6:7], v[10:11], 0xbf8c6ea4a57d9582
	;; [unrolled: 3-line block ×9, first 2 shown]
	v_mul_f64_e32 v[6:7], v[6:7], v[10:11]
	s_delay_alu instid0(VALU_DEP_1) | instskip(NEXT) | instid1(VALU_DEP_1)
	v_fmac_f64_e32 v[4:5], v[4:5], v[6:7]
	v_fma_f64 v[6:7], s[26:27], s[24:25], -v[4:5]
	s_delay_alu instid0(VALU_DEP_1) | instskip(NEXT) | instid1(VALU_DEP_1)
	v_dual_cndmask_b32 v5, v5, v7 :: v_dual_cndmask_b32 v4, v4, v6
	v_bfi_b32 v5, 0x7fffffff, v5, v3
	s_delay_alu instid0(VALU_DEP_1)
	v_add_f64_e32 v[2:3], v[2:3], v[4:5]
.LBB0_48:                               ;   in Loop: Header=BB0_37 Depth=2
	s_delay_alu instid0(VALU_DEP_1)
	v_mov_b64_e32 v[4:5], v[2:3]
.LBB0_49:                               ;   in Loop: Header=BB0_37 Depth=2
	s_delay_alu instid0(VALU_DEP_1) | instskip(NEXT) | instid1(VALU_DEP_1)
	v_add_f64_e32 v[2:3], v[4:5], v[4:5]
                                        ; implicit-def: $vgpr50
                                        ; implicit-def: $vgpr42_vgpr43
                                        ; implicit-def: $vgpr44_vgpr45
	v_cmp_ngt_f64_e64 s2, 0x41d00000, |v[2:3]|
	v_trig_preop_f64 v[10:11], |v[2:3]|, 0
	v_trig_preop_f64 v[6:7], |v[2:3]|, 1
	v_ldexp_f64 v[12:13], |v[2:3]|, 0xffffff80
	v_trig_preop_f64 v[4:5], |v[2:3]|, 2
	v_and_b32_e32 v49, 0x7fffffff, v3
	s_wait_xcnt 0x0
	s_and_saveexec_b32 s0, s2
	s_delay_alu instid0(SALU_CYCLE_1)
	s_xor_b32 s0, exec_lo, s0
	s_cbranch_execz .LBB0_51
; %bb.50:                               ;   in Loop: Header=BB0_37 Depth=2
	v_cmp_le_f64_e64 vcc_lo, 0x7b000000, |v[2:3]|
	s_delay_alu instid0(VALU_DEP_4) | instskip(NEXT) | instid1(VALU_DEP_1)
	v_dual_cndmask_b32 v15, v49, v13 :: v_dual_cndmask_b32 v14, v2, v12
	v_mul_f64_e32 v[42:43], v[10:11], v[14:15]
	v_mul_f64_e32 v[44:45], v[6:7], v[14:15]
	;; [unrolled: 1-line block ×3, first 2 shown]
	s_delay_alu instid0(VALU_DEP_3) | instskip(NEXT) | instid1(VALU_DEP_3)
	v_fma_f64 v[50:51], v[10:11], v[14:15], -v[42:43]
	v_fma_f64 v[62:63], v[6:7], v[14:15], -v[44:45]
	s_delay_alu instid0(VALU_DEP_3) | instskip(NEXT) | instid1(VALU_DEP_3)
	v_fma_f64 v[14:15], v[4:5], v[14:15], -v[60:61]
	v_add_f64_e32 v[52:53], v[44:45], v[50:51]
	s_delay_alu instid0(VALU_DEP_1) | instskip(SKIP_1) | instid1(VALU_DEP_2)
	v_add_f64_e64 v[54:55], v[52:53], -v[44:45]
	v_add_f64_e32 v[58:59], v[42:43], v[52:53]
	v_add_f64_e64 v[56:57], v[52:53], -v[54:55]
	v_add_f64_e64 v[50:51], v[50:51], -v[54:55]
	s_delay_alu instid0(VALU_DEP_3) | instskip(NEXT) | instid1(VALU_DEP_3)
	v_ldexp_f64 v[54:55], v[58:59], -2
	v_add_f64_e64 v[44:45], v[44:45], -v[56:57]
	v_add_f64_e32 v[56:57], v[60:61], v[62:63]
	s_delay_alu instid0(VALU_DEP_3) | instskip(NEXT) | instid1(VALU_DEP_3)
	v_cmp_neq_f64_e64 vcc_lo, 0x7ff00000, |v[54:55]|
	v_add_f64_e32 v[44:45], v[50:51], v[44:45]
	v_fract_f64_e32 v[50:51], v[54:55]
	s_delay_alu instid0(VALU_DEP_1) | instskip(NEXT) | instid1(VALU_DEP_1)
	v_ldexp_f64 v[50:51], v[50:51], 2
	v_cndmask_b32_e32 v50, 0, v50, vcc_lo
	v_add_f64_e64 v[42:43], v[58:59], -v[42:43]
	s_delay_alu instid0(VALU_DEP_3) | instskip(NEXT) | instid1(VALU_DEP_2)
	v_cndmask_b32_e32 v51, 0, v51, vcc_lo
	v_add_f64_e64 v[42:43], v[52:53], -v[42:43]
	v_add_f64_e32 v[52:53], v[56:57], v[44:45]
	s_delay_alu instid0(VALU_DEP_1) | instskip(SKIP_1) | instid1(VALU_DEP_2)
	v_add_f64_e32 v[54:55], v[42:43], v[52:53]
	v_add_f64_e64 v[64:65], v[52:53], -v[56:57]
	v_add_f64_e32 v[58:59], v[54:55], v[50:51]
	s_delay_alu instid0(VALU_DEP_2) | instskip(SKIP_2) | instid1(VALU_DEP_4)
	v_add_f64_e64 v[70:71], v[52:53], -v[64:65]
	v_add_f64_e64 v[44:45], v[44:45], -v[64:65]
	;; [unrolled: 1-line block ×3, first 2 shown]
	v_cmp_gt_f64_e32 vcc_lo, 0, v[58:59]
	v_add_f64_e64 v[58:59], v[56:57], -v[60:61]
	s_delay_alu instid0(VALU_DEP_3) | instskip(SKIP_1) | instid1(VALU_DEP_3)
	v_add_f64_e64 v[42:43], v[52:53], -v[42:43]
	v_cndmask_b32_e64 v39, 0, 0x40100000, vcc_lo
	v_add_f64_e64 v[68:69], v[56:57], -v[58:59]
	v_add_f64_e64 v[58:59], v[62:63], -v[58:59]
	;; [unrolled: 1-line block ×3, first 2 shown]
	s_delay_alu instid0(VALU_DEP_4) | instskip(NEXT) | instid1(VALU_DEP_4)
	v_add_f64_e32 v[50:51], v[50:51], v[38:39]
	v_add_f64_e64 v[62:63], v[60:61], -v[68:69]
	s_delay_alu instid0(VALU_DEP_3) | instskip(NEXT) | instid1(VALU_DEP_3)
	v_add_f64_e32 v[44:45], v[44:45], v[56:57]
	v_add_f64_e32 v[66:67], v[54:55], v[50:51]
	s_delay_alu instid0(VALU_DEP_3) | instskip(NEXT) | instid1(VALU_DEP_2)
	v_add_f64_e32 v[58:59], v[58:59], v[62:63]
	v_cvt_i32_f64_e32 v39, v[66:67]
	s_delay_alu instid0(VALU_DEP_2) | instskip(NEXT) | instid1(VALU_DEP_2)
	v_add_f64_e32 v[44:45], v[58:59], v[44:45]
	v_cvt_f64_i32_e32 v[64:65], v39
	s_delay_alu instid0(VALU_DEP_2) | instskip(NEXT) | instid1(VALU_DEP_2)
	v_add_f64_e32 v[14:15], v[14:15], v[44:45]
	v_add_f64_e64 v[50:51], v[50:51], -v[64:65]
	s_delay_alu instid0(VALU_DEP_2) | instskip(NEXT) | instid1(VALU_DEP_2)
	v_add_f64_e32 v[14:15], v[42:43], v[14:15]
	v_add_f64_e32 v[56:57], v[54:55], v[50:51]
	s_delay_alu instid0(VALU_DEP_1) | instskip(SKIP_1) | instid1(VALU_DEP_2)
	v_add_f64_e64 v[44:45], v[56:57], -v[50:51]
	v_cmp_le_f64_e32 vcc_lo, 0.5, v[56:57]
	v_add_f64_e64 v[42:43], v[54:55], -v[44:45]
	v_add_co_ci_u32_e64 v50, null, 0, v39, vcc_lo
	v_cndmask_b32_e64 v39, 0, 0x3ff00000, vcc_lo
	s_delay_alu instid0(VALU_DEP_3) | instskip(NEXT) | instid1(VALU_DEP_2)
	v_add_f64_e32 v[14:15], v[14:15], v[42:43]
	v_add_f64_e64 v[42:43], v[56:57], -v[38:39]
	s_delay_alu instid0(VALU_DEP_1) | instskip(NEXT) | instid1(VALU_DEP_1)
	v_add_f64_e32 v[44:45], v[42:43], v[14:15]
	v_mul_f64_e32 v[52:53], 0x3ff921fb54442d18, v[44:45]
	v_add_f64_e64 v[42:43], v[44:45], -v[42:43]
	s_delay_alu instid0(VALU_DEP_2) | instskip(NEXT) | instid1(VALU_DEP_2)
	v_fma_f64 v[54:55], v[44:45], s[28:29], -v[52:53]
	v_add_f64_e64 v[14:15], v[14:15], -v[42:43]
	s_delay_alu instid0(VALU_DEP_2) | instskip(NEXT) | instid1(VALU_DEP_1)
	v_fmac_f64_e32 v[54:55], 0x3c91a62633145c07, v[44:45]
	v_fmac_f64_e32 v[54:55], 0x3ff921fb54442d18, v[14:15]
	s_delay_alu instid0(VALU_DEP_1) | instskip(NEXT) | instid1(VALU_DEP_1)
	v_add_f64_e32 v[42:43], v[52:53], v[54:55]
	v_add_f64_e64 v[14:15], v[42:43], -v[52:53]
	s_delay_alu instid0(VALU_DEP_1)
	v_add_f64_e64 v[44:45], v[54:55], -v[14:15]
.LBB0_51:                               ;   in Loop: Header=BB0_37 Depth=2
	s_or_saveexec_b32 s0, s0
	v_mul_f64_e64 v[14:15], |v[2:3]|, s[30:31]
	s_delay_alu instid0(VALU_DEP_1)
	v_rndne_f64_e32 v[14:15], v[14:15]
	s_xor_b32 exec_lo, exec_lo, s0
	s_cbranch_execz .LBB0_53
; %bb.52:                               ;   in Loop: Header=BB0_37 Depth=2
	s_delay_alu instid0(VALU_DEP_1) | instskip(SKIP_1) | instid1(VALU_DEP_2)
	v_fma_f64 v[42:43], v[14:15], s[34:35], |v[2:3]|
	v_mul_f64_e32 v[44:45], 0xbc91a62633145c00, v[14:15]
	v_fmamk_f64 v[54:55], v[14:15], 0xbc91a62633145c00, v[42:43]
	s_delay_alu instid0(VALU_DEP_2) | instskip(NEXT) | instid1(VALU_DEP_1)
	v_add_f64_e32 v[50:51], v[42:43], v[44:45]
	v_add_f64_e64 v[52:53], v[42:43], -v[50:51]
	s_delay_alu instid0(VALU_DEP_3) | instskip(NEXT) | instid1(VALU_DEP_2)
	v_add_f64_e64 v[42:43], v[50:51], -v[54:55]
	v_add_f64_e32 v[50:51], v[52:53], v[44:45]
	v_fmamk_f64 v[44:45], v[14:15], 0x3c91a62633145c00, v[44:45]
	s_delay_alu instid0(VALU_DEP_2) | instskip(NEXT) | instid1(VALU_DEP_1)
	v_add_f64_e32 v[42:43], v[42:43], v[50:51]
	v_add_f64_e64 v[44:45], v[42:43], -v[44:45]
	s_delay_alu instid0(VALU_DEP_1) | instskip(NEXT) | instid1(VALU_DEP_1)
	v_fmac_f64_e32 v[44:45], 0xb97b839a252049c0, v[14:15]
	v_add_f64_e32 v[42:43], v[54:55], v[44:45]
	s_delay_alu instid0(VALU_DEP_1) | instskip(NEXT) | instid1(VALU_DEP_1)
	v_add_f64_e64 v[50:51], v[42:43], -v[54:55]
	v_add_f64_e64 v[44:45], v[44:45], -v[50:51]
	v_cvt_i32_f64_e32 v50, v[14:15]
.LBB0_53:                               ;   in Loop: Header=BB0_37 Depth=2
	s_or_b32 exec_lo, exec_lo, s0
	v_mul_f64_e32 v[52:53], v[42:43], v[42:43]
	s_delay_alu instid0(VALU_DEP_3) | instskip(SKIP_1) | instid1(VALU_DEP_4)
	v_mul_f64_e32 v[58:59], 0.5, v[44:45]
	v_cmp_class_f64_e64 vcc_lo, v[2:3], 0x1f8
	v_and_b32_e32 v39, 1, v50
	s_delay_alu instid0(VALU_DEP_1) | instskip(SKIP_3) | instid1(VALU_DEP_1)
	v_cmp_eq_u32_e64 s0, 0, v39
	v_mul_f64_e32 v[54:55], 0.5, v[52:53]
	v_mul_f64_e64 v[60:61], v[42:43], -v[52:53]
	v_fmamk_f64 v[64:65], v[52:53], 0x3de5e0b2f9a43bb8, v[34:35]
	v_fmaak_f64 v[64:65], v[52:53], v[64:65], 0x3ec71de3796cde01
	s_delay_alu instid0(VALU_DEP_1) | instskip(NEXT) | instid1(VALU_DEP_1)
	v_fmaak_f64 v[64:65], v[52:53], v[64:65], 0xbf2a01a019e83e5c
	v_fmaak_f64 v[64:65], v[52:53], v[64:65], 0x3f81111111110bb3
	v_add_f64_e64 v[56:57], -v[54:55], 1.0
	s_delay_alu instid0(VALU_DEP_2) | instskip(SKIP_1) | instid1(VALU_DEP_3)
	v_fmac_f64_e32 v[58:59], v[60:61], v[64:65]
	v_mul_f64_e32 v[64:65], v[52:53], v[52:53]
	v_add_f64_e64 v[62:63], -v[56:57], 1.0
	s_delay_alu instid0(VALU_DEP_3) | instskip(NEXT) | instid1(VALU_DEP_2)
	v_fma_f64 v[58:59], v[52:53], v[58:59], -v[44:45]
	v_add_f64_e64 v[54:55], v[62:63], -v[54:55]
	v_fmamk_f64 v[62:63], v[52:53], 0xbda907db46cc5e42, v[32:33]
	s_delay_alu instid0(VALU_DEP_3) | instskip(NEXT) | instid1(VALU_DEP_3)
	v_fmac_f64_e32 v[58:59], 0xbfc5555555555555, v[60:61]
	v_fma_f64 v[44:45], v[42:43], -v[44:45], v[54:55]
	s_delay_alu instid0(VALU_DEP_3) | instskip(NEXT) | instid1(VALU_DEP_3)
	v_fmaak_f64 v[54:55], v[52:53], v[62:63], 0xbe927e4fa17f65f6
	v_add_f64_e64 v[42:43], v[42:43], -v[58:59]
	s_delay_alu instid0(VALU_DEP_2) | instskip(NEXT) | instid1(VALU_DEP_1)
	v_fmaak_f64 v[54:55], v[52:53], v[54:55], 0x3efa01a019f4ec90
	v_fmaak_f64 v[54:55], v[52:53], v[54:55], 0xbf56c16c16c16967
	s_delay_alu instid0(VALU_DEP_1) | instskip(NEXT) | instid1(VALU_DEP_1)
	v_fmaak_f64 v[52:53], v[52:53], v[54:55], 0x3fa5555555555555
	v_fmac_f64_e32 v[44:45], v[64:65], v[52:53]
	s_delay_alu instid0(VALU_DEP_1) | instskip(NEXT) | instid1(VALU_DEP_1)
	v_add_f64_e32 v[44:45], v[56:57], v[44:45]
	v_cndmask_b32_e64 v39, v42, v44, s0
	v_xor_b32_e32 v42, 0x80000000, v43
	v_lshlrev_b32_e32 v43, 30, v50
                                        ; implicit-def: $vgpr50
	s_delay_alu instid0(VALU_DEP_2) | instskip(NEXT) | instid1(VALU_DEP_1)
	v_cndmask_b32_e64 v42, v42, v45, s0
                                        ; implicit-def: $vgpr44_vgpr45
	v_bitop3_b32 v43, v42, v43, 0x80000000 bitop3:0x78
	v_cndmask_b32_e32 v42, 0, v39, vcc_lo
	s_delay_alu instid0(VALU_DEP_2) | instskip(SKIP_2) | instid1(SALU_CYCLE_1)
	v_cndmask_b32_e32 v43, 0x7ff80000, v43, vcc_lo
	ds_store_b64 v48, v[42:43]
                                        ; implicit-def: $vgpr42_vgpr43
	s_and_saveexec_b32 s0, s2
	s_xor_b32 s2, exec_lo, s0
	s_cbranch_execz .LBB0_55
; %bb.54:                               ;   in Loop: Header=BB0_37 Depth=2
	v_cmp_le_f64_e64 s0, 0x7b000000, |v[2:3]|
	s_delay_alu instid0(VALU_DEP_1) | instskip(NEXT) | instid1(VALU_DEP_1)
	v_dual_cndmask_b32 v13, v49, v13, s0 :: v_dual_cndmask_b32 v12, v2, v12, s0
	v_mul_f64_e32 v[14:15], v[10:11], v[12:13]
	v_mul_f64_e32 v[42:43], v[6:7], v[12:13]
	;; [unrolled: 1-line block ×3, first 2 shown]
	s_delay_alu instid0(VALU_DEP_3) | instskip(NEXT) | instid1(VALU_DEP_3)
	v_fma_f64 v[10:11], v[10:11], v[12:13], -v[14:15]
	v_fma_f64 v[6:7], v[6:7], v[12:13], -v[42:43]
	s_delay_alu instid0(VALU_DEP_3) | instskip(NEXT) | instid1(VALU_DEP_3)
	v_fma_f64 v[4:5], v[4:5], v[12:13], -v[56:57]
	v_add_f64_e32 v[44:45], v[42:43], v[10:11]
	s_delay_alu instid0(VALU_DEP_1) | instskip(SKIP_1) | instid1(VALU_DEP_2)
	v_add_f64_e64 v[50:51], v[44:45], -v[42:43]
	v_add_f64_e32 v[54:55], v[14:15], v[44:45]
	v_add_f64_e64 v[52:53], v[44:45], -v[50:51]
	v_add_f64_e64 v[10:11], v[10:11], -v[50:51]
	s_delay_alu instid0(VALU_DEP_3) | instskip(NEXT) | instid1(VALU_DEP_3)
	v_ldexp_f64 v[50:51], v[54:55], -2
	v_add_f64_e64 v[42:43], v[42:43], -v[52:53]
	v_add_f64_e32 v[52:53], v[56:57], v[6:7]
	s_delay_alu instid0(VALU_DEP_3) | instskip(NEXT) | instid1(VALU_DEP_3)
	v_cmp_neq_f64_e64 s0, 0x7ff00000, |v[50:51]|
	v_add_f64_e32 v[10:11], v[10:11], v[42:43]
	v_fract_f64_e32 v[42:43], v[50:51]
	s_delay_alu instid0(VALU_DEP_1) | instskip(NEXT) | instid1(VALU_DEP_1)
	v_ldexp_f64 v[42:43], v[42:43], 2
	v_cndmask_b32_e64 v43, 0, v43, s0
	v_add_f64_e64 v[14:15], v[54:55], -v[14:15]
	s_delay_alu instid0(VALU_DEP_3) | instskip(NEXT) | instid1(VALU_DEP_2)
	v_cndmask_b32_e64 v42, 0, v42, s0
	v_add_f64_e64 v[14:15], v[44:45], -v[14:15]
	v_add_f64_e32 v[44:45], v[52:53], v[10:11]
	s_delay_alu instid0(VALU_DEP_1) | instskip(SKIP_1) | instid1(VALU_DEP_2)
	v_add_f64_e32 v[50:51], v[14:15], v[44:45]
	v_add_f64_e64 v[58:59], v[44:45], -v[52:53]
	v_add_f64_e32 v[54:55], v[50:51], v[42:43]
	s_delay_alu instid0(VALU_DEP_2) | instskip(SKIP_2) | instid1(VALU_DEP_4)
	v_add_f64_e64 v[64:65], v[44:45], -v[58:59]
	v_add_f64_e64 v[10:11], v[10:11], -v[58:59]
	;; [unrolled: 1-line block ×3, first 2 shown]
	v_cmp_gt_f64_e64 s0, 0, v[54:55]
	v_add_f64_e64 v[54:55], v[52:53], -v[56:57]
	s_delay_alu instid0(VALU_DEP_3) | instskip(NEXT) | instid1(VALU_DEP_3)
	v_add_f64_e64 v[12:13], v[44:45], -v[12:13]
	v_cndmask_b32_e64 v39, 0, 0x40100000, s0
	s_delay_alu instid0(VALU_DEP_3) | instskip(SKIP_2) | instid1(VALU_DEP_4)
	v_add_f64_e64 v[62:63], v[52:53], -v[54:55]
	v_add_f64_e64 v[6:7], v[6:7], -v[54:55]
	;; [unrolled: 1-line block ×3, first 2 shown]
	v_add_f64_e32 v[42:43], v[42:43], v[38:39]
	s_delay_alu instid0(VALU_DEP_4) | instskip(NEXT) | instid1(VALU_DEP_3)
	v_add_f64_e64 v[54:55], v[56:57], -v[62:63]
	v_add_f64_e32 v[10:11], v[10:11], v[52:53]
	s_delay_alu instid0(VALU_DEP_3) | instskip(NEXT) | instid1(VALU_DEP_3)
	v_add_f64_e32 v[60:61], v[50:51], v[42:43]
	v_add_f64_e32 v[6:7], v[6:7], v[54:55]
	s_delay_alu instid0(VALU_DEP_2) | instskip(NEXT) | instid1(VALU_DEP_2)
	v_cvt_i32_f64_e32 v39, v[60:61]
	v_add_f64_e32 v[6:7], v[6:7], v[10:11]
	s_delay_alu instid0(VALU_DEP_2) | instskip(NEXT) | instid1(VALU_DEP_2)
	v_cvt_f64_i32_e32 v[58:59], v39
	v_add_f64_e32 v[4:5], v[4:5], v[6:7]
	s_delay_alu instid0(VALU_DEP_2) | instskip(NEXT) | instid1(VALU_DEP_2)
	v_add_f64_e64 v[42:43], v[42:43], -v[58:59]
	v_add_f64_e32 v[4:5], v[12:13], v[4:5]
	s_delay_alu instid0(VALU_DEP_2) | instskip(NEXT) | instid1(VALU_DEP_1)
	v_add_f64_e32 v[10:11], v[50:51], v[42:43]
	v_add_f64_e64 v[6:7], v[10:11], -v[42:43]
	v_cmp_le_f64_e64 s0, 0.5, v[10:11]
	s_delay_alu instid0(VALU_DEP_2) | instskip(NEXT) | instid1(VALU_DEP_2)
	v_add_f64_e64 v[6:7], v[50:51], -v[6:7]
	v_add_co_ci_u32_e64 v50, null, 0, v39, s0
	v_cndmask_b32_e64 v39, 0, 0x3ff00000, s0
	s_delay_alu instid0(VALU_DEP_3) | instskip(NEXT) | instid1(VALU_DEP_2)
	v_add_f64_e32 v[4:5], v[4:5], v[6:7]
	v_add_f64_e64 v[6:7], v[10:11], -v[38:39]
	s_delay_alu instid0(VALU_DEP_1) | instskip(NEXT) | instid1(VALU_DEP_1)
	v_add_f64_e32 v[10:11], v[6:7], v[4:5]
	v_mul_f64_e32 v[12:13], 0x3ff921fb54442d18, v[10:11]
	v_add_f64_e64 v[6:7], v[10:11], -v[6:7]
	s_delay_alu instid0(VALU_DEP_2) | instskip(NEXT) | instid1(VALU_DEP_2)
	v_fma_f64 v[14:15], v[10:11], s[28:29], -v[12:13]
	v_add_f64_e64 v[4:5], v[4:5], -v[6:7]
	s_delay_alu instid0(VALU_DEP_2) | instskip(NEXT) | instid1(VALU_DEP_1)
	v_fmac_f64_e32 v[14:15], 0x3c91a62633145c07, v[10:11]
	v_fmac_f64_e32 v[14:15], 0x3ff921fb54442d18, v[4:5]
	s_delay_alu instid0(VALU_DEP_1) | instskip(NEXT) | instid1(VALU_DEP_1)
	v_add_f64_e32 v[42:43], v[12:13], v[14:15]
	v_add_f64_e64 v[4:5], v[42:43], -v[12:13]
	s_delay_alu instid0(VALU_DEP_1)
	v_add_f64_e64 v[44:45], v[14:15], -v[4:5]
                                        ; implicit-def: $vgpr14_vgpr15
.LBB0_55:                               ;   in Loop: Header=BB0_37 Depth=2
	s_and_not1_saveexec_b32 s0, s2
	s_cbranch_execz .LBB0_36
; %bb.56:                               ;   in Loop: Header=BB0_37 Depth=2
	v_fma_f64 v[4:5], v[14:15], s[34:35], |v[2:3]|
	v_mul_f64_e32 v[6:7], 0xbc91a62633145c00, v[14:15]
	v_cvt_i32_f64_e32 v50, v[14:15]
	s_delay_alu instid0(VALU_DEP_2) | instskip(NEXT) | instid1(VALU_DEP_1)
	v_add_f64_e32 v[10:11], v[4:5], v[6:7]
	v_add_f64_e64 v[12:13], v[4:5], -v[10:11]
	v_fmamk_f64 v[4:5], v[14:15], 0xbc91a62633145c00, v[4:5]
	s_delay_alu instid0(VALU_DEP_1) | instskip(NEXT) | instid1(VALU_DEP_3)
	v_add_f64_e64 v[10:11], v[10:11], -v[4:5]
	v_add_f64_e32 v[12:13], v[12:13], v[6:7]
	v_fmamk_f64 v[6:7], v[14:15], 0x3c91a62633145c00, v[6:7]
	s_delay_alu instid0(VALU_DEP_2) | instskip(NEXT) | instid1(VALU_DEP_1)
	v_add_f64_e32 v[10:11], v[10:11], v[12:13]
	v_add_f64_e64 v[6:7], v[10:11], -v[6:7]
	s_delay_alu instid0(VALU_DEP_1) | instskip(NEXT) | instid1(VALU_DEP_1)
	v_fmac_f64_e32 v[6:7], 0xb97b839a252049c0, v[14:15]
	v_add_f64_e32 v[42:43], v[4:5], v[6:7]
	s_delay_alu instid0(VALU_DEP_1) | instskip(NEXT) | instid1(VALU_DEP_1)
	v_add_f64_e64 v[4:5], v[42:43], -v[4:5]
	v_add_f64_e64 v[44:45], v[6:7], -v[4:5]
	s_branch .LBB0_36
.LBB0_57:                               ;   in Loop: Header=BB0_34 Depth=1
	v_mad_u32 v0, v41, s7, v47
	v_cmp_eq_u32_e32 vcc_lo, v46, v47
	s_mov_b32 s1, exec_lo
	s_delay_alu instid0(VALU_DEP_2) | instskip(NEXT) | instid1(VALU_DEP_1)
	v_subrev_co_ci_u32_e64 v0, null, 0, v0, vcc_lo
	v_ashrrev_i32_e32 v1, 31, v0
	s_delay_alu instid0(VALU_DEP_1) | instskip(NEXT) | instid1(VALU_DEP_1)
	v_lshlrev_b64_e32 v[0:1], 5, v[0:1]
	v_add_nc_u64_e32 v[10:11], s[10:11], v[0:1]
	s_clause 0x1
	global_load_b128 v[4:7], v[10:11], off
	global_load_b128 v[0:3], v[10:11], off offset:16
	s_wait_loadcnt 0x1
	v_mul_f64_e32 v[44:45], v[18:19], v[4:5]
	v_mul_f64_e32 v[42:43], v[18:19], v[6:7]
	s_wait_loadcnt 0x0
	v_mul_f64_e32 v[0:1], v[18:19], v[0:1]
	v_cmpx_lt_i32_e64 v2, v3
	s_cbranch_execz .LBB0_61
; %bb.58:                               ;   in Loop: Header=BB0_34 Depth=1
	v_mad_u32 v4, v41, s16, v2
	s_mov_b32 s2, 0
	s_delay_alu instid0(VALU_DEP_1)
	v_mad_nc_i64_i32 v[10:11], 0x48, v4, s[22:23]
.LBB0_59:                               ;   Parent Loop BB0_34 Depth=1
                                        ; =>  This Inner Loop Header: Depth=2
	s_clause 0x2
	global_load_b128 v[12:15], v[10:11], off
	global_load_b128 v[4:7], v[10:11], off offset:16
	global_load_i16 v39, v[10:11], off offset:64
	s_wait_loadcnt 0x2
	v_dual_add_f64 v[12:13], v[12:13], -v[36:37] :: v_dual_add_nc_u32 v2, 1, v2
	v_mul_f64_e32 v[48:49], v[14:15], v[14:15]
	s_wait_loadcnt 0x0
	v_lshl_add_u32 v39, v39, 4, v85
	s_delay_alu instid0(VALU_DEP_3) | instskip(NEXT) | instid1(VALU_DEP_3)
	v_fma_f64 v[50:51], 0, v[12:13], v[14:15]
	v_fmac_f64_e32 v[48:49], v[12:13], v[12:13]
	v_fmac_f64_e32 v[12:13], 0x80000000, v[14:15]
	s_delay_alu instid0(VALU_DEP_2) | instskip(NEXT) | instid1(VALU_DEP_2)
	v_div_scale_f64 v[14:15], null, v[48:49], v[48:49], v[50:51]
	v_div_scale_f64 v[52:53], null, v[48:49], v[48:49], v[12:13]
	v_div_scale_f64 v[62:63], vcc_lo, v[50:51], v[48:49], v[50:51]
	s_delay_alu instid0(VALU_DEP_3) | instskip(NEXT) | instid1(VALU_DEP_2)
	v_rcp_f64_e32 v[54:55], v[14:15]
	v_rcp_f64_e32 v[56:57], v[52:53]
	s_delay_alu instid0(TRANS32_DEP_2) | instskip(NEXT) | instid1(TRANS32_DEP_1)
	v_fma_f64 v[58:59], -v[14:15], v[54:55], 1.0
	v_fma_f64 v[60:61], -v[52:53], v[56:57], 1.0
	s_delay_alu instid0(VALU_DEP_2) | instskip(NEXT) | instid1(VALU_DEP_2)
	v_fmac_f64_e32 v[54:55], v[54:55], v[58:59]
	v_fmac_f64_e32 v[56:57], v[56:57], v[60:61]
	s_delay_alu instid0(VALU_DEP_2) | instskip(NEXT) | instid1(VALU_DEP_2)
	v_fma_f64 v[58:59], -v[14:15], v[54:55], 1.0
	v_fma_f64 v[60:61], -v[52:53], v[56:57], 1.0
	s_delay_alu instid0(VALU_DEP_2) | instskip(SKIP_1) | instid1(VALU_DEP_3)
	v_fmac_f64_e32 v[54:55], v[54:55], v[58:59]
	v_div_scale_f64 v[58:59], s0, v[12:13], v[48:49], v[12:13]
	v_fmac_f64_e32 v[56:57], v[56:57], v[60:61]
	s_delay_alu instid0(VALU_DEP_3) | instskip(NEXT) | instid1(VALU_DEP_2)
	v_mul_f64_e32 v[60:61], v[62:63], v[54:55]
	v_mul_f64_e32 v[64:65], v[58:59], v[56:57]
	s_delay_alu instid0(VALU_DEP_2) | instskip(NEXT) | instid1(VALU_DEP_2)
	v_fma_f64 v[14:15], -v[14:15], v[60:61], v[62:63]
	v_fma_f64 v[52:53], -v[52:53], v[64:65], v[58:59]
	s_delay_alu instid0(VALU_DEP_2) | instskip(SKIP_1) | instid1(VALU_DEP_2)
	v_div_fmas_f64 v[14:15], v[14:15], v[54:55], v[60:61]
	s_mov_b32 vcc_lo, s0
	v_div_fmas_f64 v[52:53], v[52:53], v[56:57], v[64:65]
	s_delay_alu instid0(VALU_DEP_2) | instskip(NEXT) | instid1(VALU_DEP_2)
	v_div_fixup_f64 v[14:15], v[14:15], v[48:49], v[50:51]
	v_div_fixup_f64 v[12:13], v[52:53], v[48:49], v[12:13]
	s_delay_alu instid0(VALU_DEP_2) | instskip(NEXT) | instid1(VALU_DEP_2)
	v_mul_f64_e32 v[56:57], 0x80000000, v[14:15]
	v_mul_f64_e32 v[52:53], 0, v[12:13]
	s_delay_alu instid0(VALU_DEP_2) | instskip(NEXT) | instid1(VALU_DEP_2)
	v_fmac_f64_e32 v[56:57], v[18:19], v[12:13]
	v_fmac_f64_e32 v[52:53], v[18:19], v[14:15]
	s_clause 0x1
	global_load_b128 v[12:15], v[10:11], off offset:32
	global_load_b128 v[48:51], v[10:11], off offset:48
	s_wait_xcnt 0x0
	v_add_nc_u64_e32 v[10:11], 0x48, v[10:11]
	v_div_scale_f64 v[58:59], null, v[22:23], v[22:23], v[56:57]
	v_div_scale_f64 v[54:55], null, v[22:23], v[22:23], v[52:53]
	s_delay_alu instid0(VALU_DEP_2) | instskip(NEXT) | instid1(VALU_DEP_1)
	v_rcp_f64_e32 v[62:63], v[58:59]
	v_rcp_f64_e32 v[60:61], v[54:55]
	s_delay_alu instid0(TRANS32_DEP_2) | instskip(NEXT) | instid1(TRANS32_DEP_1)
	v_fma_f64 v[66:67], -v[58:59], v[62:63], 1.0
	v_fma_f64 v[64:65], -v[54:55], v[60:61], 1.0
	s_delay_alu instid0(VALU_DEP_2) | instskip(SKIP_1) | instid1(VALU_DEP_3)
	v_fmac_f64_e32 v[62:63], v[62:63], v[66:67]
	v_div_scale_f64 v[66:67], vcc_lo, v[52:53], v[22:23], v[52:53]
	v_fmac_f64_e32 v[60:61], v[60:61], v[64:65]
	s_delay_alu instid0(VALU_DEP_3) | instskip(NEXT) | instid1(VALU_DEP_2)
	v_fma_f64 v[68:69], -v[58:59], v[62:63], 1.0
	v_fma_f64 v[64:65], -v[54:55], v[60:61], 1.0
	s_delay_alu instid0(VALU_DEP_2) | instskip(NEXT) | instid1(VALU_DEP_2)
	v_fmac_f64_e32 v[62:63], v[62:63], v[68:69]
	v_fmac_f64_e32 v[60:61], v[60:61], v[64:65]
	v_div_scale_f64 v[64:65], s0, v[56:57], v[22:23], v[56:57]
	s_delay_alu instid0(VALU_DEP_2) | instskip(NEXT) | instid1(VALU_DEP_2)
	v_mul_f64_e32 v[68:69], v[66:67], v[60:61]
	v_mul_f64_e32 v[70:71], v[64:65], v[62:63]
	s_delay_alu instid0(VALU_DEP_2) | instskip(NEXT) | instid1(VALU_DEP_2)
	v_fma_f64 v[54:55], -v[54:55], v[68:69], v[66:67]
	v_fma_f64 v[58:59], -v[58:59], v[70:71], v[64:65]
	s_delay_alu instid0(VALU_DEP_2) | instskip(SKIP_1) | instid1(VALU_DEP_2)
	v_div_fmas_f64 v[54:55], v[54:55], v[60:61], v[68:69]
	s_mov_b32 vcc_lo, s0
	v_div_fmas_f64 v[58:59], v[58:59], v[62:63], v[70:71]
	v_cmp_ge_i32_e32 vcc_lo, v2, v3
	s_or_b32 s2, vcc_lo, s2
	s_delay_alu instid0(VALU_DEP_3) | instskip(SKIP_4) | instid1(VALU_DEP_2)
	v_div_fixup_f64 v[60:61], v[54:55], v[22:23], v[52:53]
	ds_load_b128 v[52:55], v39
	v_div_fixup_f64 v[56:57], v[58:59], v[22:23], v[56:57]
	s_wait_dscnt 0x0
	v_mul_f64_e32 v[58:59], v[60:61], v[54:55]
	v_mul_f64_e32 v[54:55], v[56:57], v[54:55]
	s_wait_loadcnt 0x1
	v_mul_f64_e32 v[14:15], v[14:15], v[56:57]
	s_wait_loadcnt 0x0
	v_mul_f64_e32 v[50:51], v[50:51], v[56:57]
	s_delay_alu instid0(VALU_DEP_4) | instskip(NEXT) | instid1(VALU_DEP_4)
	v_fmac_f64_e32 v[58:59], v[56:57], v[52:53]
	v_fma_f64 v[52:53], v[60:61], v[52:53], -v[54:55]
	s_delay_alu instid0(VALU_DEP_4) | instskip(NEXT) | instid1(VALU_DEP_4)
	v_fma_f64 v[12:13], v[12:13], v[60:61], -v[14:15]
	v_fma_f64 v[14:15], v[48:49], v[60:61], -v[50:51]
	s_delay_alu instid0(VALU_DEP_4) | instskip(NEXT) | instid1(VALU_DEP_3)
	v_mul_f64_e32 v[6:7], v[6:7], v[58:59]
	v_add_f64_e32 v[42:43], v[42:43], v[12:13]
	s_delay_alu instid0(VALU_DEP_3) | instskip(NEXT) | instid1(VALU_DEP_3)
	v_add_f64_e32 v[0:1], v[0:1], v[14:15]
	v_fma_f64 v[4:5], v[4:5], v[52:53], -v[6:7]
	s_delay_alu instid0(VALU_DEP_1)
	v_add_f64_e32 v[44:45], v[44:45], v[4:5]
	s_and_not1_b32 exec_lo, exec_lo, s2
	s_cbranch_execnz .LBB0_59
; %bb.60:                               ;   in Loop: Header=BB0_34 Depth=1
	s_or_b32 exec_lo, exec_lo, s2
.LBB0_61:                               ;   in Loop: Header=BB0_34 Depth=1
	s_delay_alu instid0(SALU_CYCLE_1) | instskip(NEXT) | instid1(VALU_DEP_1)
	s_or_b32 exec_lo, exec_lo, s1
	v_add_f64_e64 v[2:3], v[44:45], -v[42:43]
	s_mov_b32 s0, 0
.LBB0_62:                               ;   in Loop: Header=BB0_34 Depth=1
	s_delay_alu instid0(SALU_CYCLE_1)
	s_and_b32 vcc_lo, exec_lo, s0
	s_cbranch_vccz .LBB0_33
; %bb.63:                               ;   in Loop: Header=BB0_34 Depth=1
	v_lshl_add_u64 v[0:1], v[8:9], 3, s[8:9]
	v_mov_b32_e32 v44, v84
	s_mov_b32 s1, 0
	s_branch .LBB0_65
.LBB0_64:                               ;   in Loop: Header=BB0_65 Depth=2
	s_or_b32 exec_lo, exec_lo, s0
	v_dual_mul_f64 v[4:5], v[14:15], v[14:15] :: v_dual_bitop2_b32 v2, 1, v48 bitop3:0x40
	s_delay_alu instid0(VALU_DEP_2) | instskip(SKIP_2) | instid1(VALU_DEP_3)
	v_mul_f64_e32 v[10:11], 0.5, v[42:43]
	v_add_nc_u64_e32 v[0:1], 8, v[0:1]
	s_add_co_i32 s1, s1, 1
	v_cmp_eq_u32_e64 s0, 0, v2
	s_cmp_lg_u32 s1, 4
	v_mul_f64_e32 v[6:7], 0.5, v[4:5]
	v_mul_f64_e64 v[12:13], v[14:15], -v[4:5]
	v_fmamk_f64 v[52:53], v[4:5], 0x3de5e0b2f9a43bb8, v[34:35]
	s_delay_alu instid0(VALU_DEP_1) | instskip(NEXT) | instid1(VALU_DEP_1)
	v_fmaak_f64 v[52:53], v[4:5], v[52:53], 0x3ec71de3796cde01
	v_fmaak_f64 v[52:53], v[4:5], v[52:53], 0xbf2a01a019e83e5c
	s_delay_alu instid0(VALU_DEP_1) | instskip(SKIP_1) | instid1(VALU_DEP_2)
	v_fmaak_f64 v[52:53], v[4:5], v[52:53], 0x3f81111111110bb3
	v_add_f64_e64 v[8:9], -v[6:7], 1.0
	v_fmac_f64_e32 v[10:11], v[12:13], v[52:53]
	v_mul_f64_e32 v[52:53], v[4:5], v[4:5]
	s_delay_alu instid0(VALU_DEP_3) | instskip(NEXT) | instid1(VALU_DEP_3)
	v_add_f64_e64 v[50:51], -v[8:9], 1.0
	v_fma_f64 v[10:11], v[4:5], v[10:11], -v[42:43]
	s_delay_alu instid0(VALU_DEP_2) | instskip(SKIP_1) | instid1(VALU_DEP_3)
	v_add_f64_e64 v[6:7], v[50:51], -v[6:7]
	v_fmamk_f64 v[50:51], v[4:5], 0xbda907db46cc5e42, v[32:33]
	v_fmac_f64_e32 v[10:11], 0xbfc5555555555555, v[12:13]
	s_delay_alu instid0(VALU_DEP_3) | instskip(NEXT) | instid1(VALU_DEP_3)
	v_fma_f64 v[6:7], v[14:15], -v[42:43], v[6:7]
	v_fmaak_f64 v[42:43], v[4:5], v[50:51], 0xbe927e4fa17f65f6
	s_delay_alu instid0(VALU_DEP_1) | instskip(NEXT) | instid1(VALU_DEP_1)
	v_fmaak_f64 v[42:43], v[4:5], v[42:43], 0x3efa01a019f4ec90
	v_fmaak_f64 v[42:43], v[4:5], v[42:43], 0xbf56c16c16c16967
	s_delay_alu instid0(VALU_DEP_1) | instskip(NEXT) | instid1(VALU_DEP_1)
	v_fmaak_f64 v[4:5], v[4:5], v[42:43], 0x3fa5555555555555
	v_fmac_f64_e32 v[6:7], v[52:53], v[4:5]
	v_add_f64_e64 v[4:5], v[14:15], -v[10:11]
	s_delay_alu instid0(VALU_DEP_2) | instskip(NEXT) | instid1(VALU_DEP_1)
	v_dual_add_f64 v[6:7], v[8:9], v[6:7] :: v_dual_lshlrev_b32 v8, 30, v48
	v_dual_cndmask_b32 v3, v6, v4, s0 :: v_dual_bitop2_b32 v2, v8, v3 bitop3:0x14
	s_delay_alu instid0(VALU_DEP_2) | instskip(NEXT) | instid1(VALU_DEP_1)
	v_cndmask_b32_e64 v4, v7, v5, s0
	v_bitop3_b32 v4, v4, v2, 0x80000000 bitop3:0x78
	s_delay_alu instid0(VALU_DEP_3) | instskip(NEXT) | instid1(VALU_DEP_2)
	v_cndmask_b32_e32 v2, 0, v3, vcc_lo
	v_cndmask_b32_e64 v3, 0xfff80000, -v4, vcc_lo
	ds_store_b64 v44, v[2:3] offset:8
	v_add_nc_u32_e32 v44, 16, v44
	s_cbranch_scc0 .LBB0_85
.LBB0_65:                               ;   Parent Loop BB0_34 Depth=1
                                        ; =>  This Inner Loop Header: Depth=2
	global_load_b64 v[2:3], v[0:1], off
	s_cmp_lt_i32 s1, 2
	s_mov_b32 s0, -1
                                        ; implicit-def: $vgpr4_vgpr5
	s_wait_loadcnt 0x0
	v_mul_f64_e32 v[2:3], v[36:37], v[2:3]
	s_cbranch_scc1 .LBB0_73
; %bb.66:                               ;   in Loop: Header=BB0_65 Depth=2
	s_cmp_lt_i32 s1, 3
                                        ; implicit-def: $vgpr4_vgpr5
	s_cbranch_scc1 .LBB0_70
; %bb.67:                               ;   in Loop: Header=BB0_65 Depth=2
	s_delay_alu instid0(VALU_DEP_1)
	v_mov_b64_e32 v[4:5], v[2:3]
	s_cmp_eq_u32 s1, 3
	s_cbranch_scc0 .LBB0_69
; %bb.68:                               ;   in Loop: Header=BB0_65 Depth=2
	v_fma_f64 v[4:5], -v[2:3], v[2:3], 0x402e0000
	v_mul_f64_e32 v[6:7], 0xc0180000, v[2:3]
	s_delay_alu instid0(VALU_DEP_2) | instskip(NEXT) | instid1(VALU_DEP_2)
	v_mul_f64_e32 v[4:5], v[2:3], v[4:5]
	v_fmaak_f64 v[6:7], v[2:3], v[6:7], 0x402e0000
	s_delay_alu instid0(VALU_DEP_1) | instskip(SKIP_1) | instid1(VALU_DEP_2)
	v_div_scale_f64 v[8:9], null, v[6:7], v[6:7], v[4:5]
	v_div_scale_f64 v[14:15], vcc_lo, v[4:5], v[6:7], v[4:5]
	v_rcp_f64_e32 v[10:11], v[8:9]
	v_nop
	s_delay_alu instid0(TRANS32_DEP_1) | instskip(NEXT) | instid1(VALU_DEP_1)
	v_fma_f64 v[12:13], -v[8:9], v[10:11], 1.0
	v_fmac_f64_e32 v[10:11], v[10:11], v[12:13]
	s_delay_alu instid0(VALU_DEP_1) | instskip(NEXT) | instid1(VALU_DEP_1)
	v_fma_f64 v[12:13], -v[8:9], v[10:11], 1.0
	v_fmac_f64_e32 v[10:11], v[10:11], v[12:13]
	s_delay_alu instid0(VALU_DEP_1) | instskip(NEXT) | instid1(VALU_DEP_1)
	v_mul_f64_e32 v[12:13], v[14:15], v[10:11]
	v_fma_f64 v[8:9], -v[8:9], v[12:13], v[14:15]
	s_delay_alu instid0(VALU_DEP_1) | instskip(NEXT) | instid1(VALU_DEP_1)
	v_div_fmas_f64 v[8:9], v[8:9], v[10:11], v[12:13]
	v_div_fixup_f64 v[4:5], v[8:9], v[6:7], v[4:5]
	s_delay_alu instid0(VALU_DEP_1) | instskip(NEXT) | instid1(VALU_DEP_2)
	v_and_b32_e32 v7, 0x7fffffff, v5
	v_mov_b32_e32 v6, v4
	s_delay_alu instid0(VALU_DEP_1) | instskip(SKIP_1) | instid1(VALU_DEP_2)
	v_div_scale_f64 v[8:9], null, v[6:7], v[6:7], 1.0
	v_div_scale_f64 v[14:15], vcc_lo, 1.0, v[6:7], 1.0
	v_rcp_f64_e32 v[10:11], v[8:9]
	v_nop
	s_delay_alu instid0(TRANS32_DEP_1) | instskip(NEXT) | instid1(VALU_DEP_1)
	v_fma_f64 v[12:13], -v[8:9], v[10:11], 1.0
	v_fmac_f64_e32 v[10:11], v[10:11], v[12:13]
	s_delay_alu instid0(VALU_DEP_1) | instskip(NEXT) | instid1(VALU_DEP_1)
	v_fma_f64 v[12:13], -v[8:9], v[10:11], 1.0
	v_fmac_f64_e32 v[10:11], v[10:11], v[12:13]
	s_delay_alu instid0(VALU_DEP_1) | instskip(NEXT) | instid1(VALU_DEP_1)
	v_mul_f64_e32 v[12:13], v[14:15], v[10:11]
	v_fma_f64 v[8:9], -v[8:9], v[12:13], v[14:15]
	s_delay_alu instid0(VALU_DEP_1) | instskip(SKIP_1) | instid1(VALU_DEP_2)
	v_div_fmas_f64 v[8:9], v[8:9], v[10:11], v[12:13]
	v_cmp_gt_f64_e64 vcc_lo, |v[4:5]|, 1.0
	v_div_fixup_f64 v[8:9], v[8:9], |v[4:5]|, 1.0
	s_delay_alu instid0(VALU_DEP_1) | instskip(NEXT) | instid1(VALU_DEP_1)
	v_dual_cndmask_b32 v7, v7, v9 :: v_dual_cndmask_b32 v6, v4, v8
	v_mul_f64_e32 v[8:9], v[6:7], v[6:7]
	s_delay_alu instid0(VALU_DEP_1) | instskip(NEXT) | instid1(VALU_DEP_1)
	v_fmamk_f64 v[10:11], v[8:9], 0x3eeba404b5e68a13, v[24:25]
	v_fmaak_f64 v[10:11], v[8:9], v[10:11], 0x3f4b2bb069efb384
	s_delay_alu instid0(VALU_DEP_1) | instskip(NEXT) | instid1(VALU_DEP_1)
	v_fmaak_f64 v[10:11], v[8:9], v[10:11], 0xbf67952daf56de9b
	v_fmaak_f64 v[10:11], v[8:9], v[10:11], 0x3f7d6d43a595c56f
	s_delay_alu instid0(VALU_DEP_1) | instskip(NEXT) | instid1(VALU_DEP_1)
	v_fmaak_f64 v[10:11], v[8:9], v[10:11], 0xbf8c6ea4a57d9582
	;; [unrolled: 3-line block ×9, first 2 shown]
	v_mul_f64_e32 v[8:9], v[8:9], v[10:11]
	s_delay_alu instid0(VALU_DEP_1) | instskip(NEXT) | instid1(VALU_DEP_1)
	v_fmac_f64_e32 v[6:7], v[6:7], v[8:9]
	v_fma_f64 v[8:9], s[26:27], s[24:25], -v[6:7]
	s_delay_alu instid0(VALU_DEP_1) | instskip(NEXT) | instid1(VALU_DEP_1)
	v_dual_cndmask_b32 v7, v7, v9 :: v_dual_cndmask_b32 v4, v6, v8
	v_bfi_b32 v5, 0x7fffffff, v7, v5
	s_delay_alu instid0(VALU_DEP_1)
	v_add_f64_e64 v[4:5], v[2:3], -v[4:5]
.LBB0_69:                               ;   in Loop: Header=BB0_65 Depth=2
	s_mov_b32 s0, 0
.LBB0_70:                               ;   in Loop: Header=BB0_65 Depth=2
	s_delay_alu instid0(SALU_CYCLE_1)
	s_and_not1_b32 vcc_lo, exec_lo, s0
	s_cbranch_vccnz .LBB0_72
; %bb.71:                               ;   in Loop: Header=BB0_65 Depth=2
	s_delay_alu instid0(VALU_DEP_1) | instskip(SKIP_1) | instid1(VALU_DEP_1)
	v_mul_f64_e32 v[4:5], 0x40080000, v[2:3]
	v_fma_f64 v[6:7], -v[2:3], v[2:3], 0x40080000
	v_div_scale_f64 v[8:9], null, v[6:7], v[6:7], v[4:5]
	v_div_scale_f64 v[14:15], vcc_lo, v[4:5], v[6:7], v[4:5]
	s_delay_alu instid0(VALU_DEP_2) | instskip(SKIP_1) | instid1(TRANS32_DEP_1)
	v_rcp_f64_e32 v[10:11], v[8:9]
	v_nop
	v_fma_f64 v[12:13], -v[8:9], v[10:11], 1.0
	s_delay_alu instid0(VALU_DEP_1) | instskip(NEXT) | instid1(VALU_DEP_1)
	v_fmac_f64_e32 v[10:11], v[10:11], v[12:13]
	v_fma_f64 v[12:13], -v[8:9], v[10:11], 1.0
	s_delay_alu instid0(VALU_DEP_1) | instskip(NEXT) | instid1(VALU_DEP_1)
	v_fmac_f64_e32 v[10:11], v[10:11], v[12:13]
	v_mul_f64_e32 v[12:13], v[14:15], v[10:11]
	s_delay_alu instid0(VALU_DEP_1) | instskip(NEXT) | instid1(VALU_DEP_1)
	v_fma_f64 v[8:9], -v[8:9], v[12:13], v[14:15]
	v_div_fmas_f64 v[8:9], v[8:9], v[10:11], v[12:13]
	s_delay_alu instid0(VALU_DEP_1) | instskip(NEXT) | instid1(VALU_DEP_1)
	v_div_fixup_f64 v[4:5], v[8:9], v[6:7], v[4:5]
	v_and_b32_e32 v7, 0x7fffffff, v5
	s_delay_alu instid0(VALU_DEP_2) | instskip(NEXT) | instid1(VALU_DEP_1)
	v_mov_b32_e32 v6, v4
	v_div_scale_f64 v[8:9], null, v[6:7], v[6:7], 1.0
	v_div_scale_f64 v[14:15], vcc_lo, 1.0, v[6:7], 1.0
	s_delay_alu instid0(VALU_DEP_2) | instskip(SKIP_1) | instid1(TRANS32_DEP_1)
	v_rcp_f64_e32 v[10:11], v[8:9]
	v_nop
	v_fma_f64 v[12:13], -v[8:9], v[10:11], 1.0
	s_delay_alu instid0(VALU_DEP_1) | instskip(NEXT) | instid1(VALU_DEP_1)
	v_fmac_f64_e32 v[10:11], v[10:11], v[12:13]
	v_fma_f64 v[12:13], -v[8:9], v[10:11], 1.0
	s_delay_alu instid0(VALU_DEP_1) | instskip(NEXT) | instid1(VALU_DEP_1)
	v_fmac_f64_e32 v[10:11], v[10:11], v[12:13]
	v_mul_f64_e32 v[12:13], v[14:15], v[10:11]
	s_delay_alu instid0(VALU_DEP_1) | instskip(NEXT) | instid1(VALU_DEP_1)
	v_fma_f64 v[8:9], -v[8:9], v[12:13], v[14:15]
	v_div_fmas_f64 v[8:9], v[8:9], v[10:11], v[12:13]
	v_cmp_gt_f64_e64 vcc_lo, |v[4:5]|, 1.0
	s_delay_alu instid0(VALU_DEP_2) | instskip(NEXT) | instid1(VALU_DEP_1)
	v_div_fixup_f64 v[8:9], v[8:9], |v[4:5]|, 1.0
	v_dual_cndmask_b32 v7, v7, v9 :: v_dual_cndmask_b32 v6, v4, v8
	s_delay_alu instid0(VALU_DEP_1) | instskip(NEXT) | instid1(VALU_DEP_1)
	v_mul_f64_e32 v[8:9], v[6:7], v[6:7]
	v_fmamk_f64 v[10:11], v[8:9], 0x3eeba404b5e68a13, v[24:25]
	s_delay_alu instid0(VALU_DEP_1) | instskip(NEXT) | instid1(VALU_DEP_1)
	v_fmaak_f64 v[10:11], v[8:9], v[10:11], 0x3f4b2bb069efb384
	v_fmaak_f64 v[10:11], v[8:9], v[10:11], 0xbf67952daf56de9b
	s_delay_alu instid0(VALU_DEP_1) | instskip(NEXT) | instid1(VALU_DEP_1)
	v_fmaak_f64 v[10:11], v[8:9], v[10:11], 0x3f7d6d43a595c56f
	v_fmaak_f64 v[10:11], v[8:9], v[10:11], 0xbf8c6ea4a57d9582
	;; [unrolled: 3-line block ×9, first 2 shown]
	s_delay_alu instid0(VALU_DEP_1) | instskip(NEXT) | instid1(VALU_DEP_1)
	v_mul_f64_e32 v[8:9], v[8:9], v[10:11]
	v_fmac_f64_e32 v[6:7], v[6:7], v[8:9]
	s_delay_alu instid0(VALU_DEP_1) | instskip(NEXT) | instid1(VALU_DEP_1)
	v_fma_f64 v[8:9], s[26:27], s[24:25], -v[6:7]
	v_dual_cndmask_b32 v7, v7, v9 :: v_dual_cndmask_b32 v4, v6, v8
	s_delay_alu instid0(VALU_DEP_1) | instskip(NEXT) | instid1(VALU_DEP_1)
	v_bfi_b32 v5, 0x7fffffff, v7, v5
	v_add_f64_e64 v[4:5], v[2:3], -v[4:5]
.LBB0_72:                               ;   in Loop: Header=BB0_65 Depth=2
	s_mov_b32 s0, 0
.LBB0_73:                               ;   in Loop: Header=BB0_65 Depth=2
	s_delay_alu instid0(SALU_CYCLE_1)
	s_and_not1_b32 vcc_lo, exec_lo, s0
	s_cbranch_vccnz .LBB0_77
; %bb.74:                               ;   in Loop: Header=BB0_65 Depth=2
	s_cmp_lg_u32 s1, 1
	s_cbranch_scc1 .LBB0_76
; %bb.75:                               ;   in Loop: Header=BB0_65 Depth=2
	s_delay_alu instid0(VALU_DEP_1) | instskip(NEXT) | instid1(VALU_DEP_2)
	v_and_b32_e32 v5, 0x7fffffff, v3
	v_mov_b32_e32 v4, v2
	s_delay_alu instid0(VALU_DEP_1) | instskip(SKIP_1) | instid1(VALU_DEP_2)
	v_div_scale_f64 v[6:7], null, v[4:5], v[4:5], 1.0
	v_div_scale_f64 v[12:13], vcc_lo, 1.0, v[4:5], 1.0
	v_rcp_f64_e32 v[8:9], v[6:7]
	v_nop
	s_delay_alu instid0(TRANS32_DEP_1) | instskip(NEXT) | instid1(VALU_DEP_1)
	v_fma_f64 v[10:11], -v[6:7], v[8:9], 1.0
	v_fmac_f64_e32 v[8:9], v[8:9], v[10:11]
	s_delay_alu instid0(VALU_DEP_1) | instskip(NEXT) | instid1(VALU_DEP_1)
	v_fma_f64 v[10:11], -v[6:7], v[8:9], 1.0
	v_fmac_f64_e32 v[8:9], v[8:9], v[10:11]
	s_delay_alu instid0(VALU_DEP_1) | instskip(NEXT) | instid1(VALU_DEP_1)
	v_mul_f64_e32 v[10:11], v[12:13], v[8:9]
	v_fma_f64 v[6:7], -v[6:7], v[10:11], v[12:13]
	s_delay_alu instid0(VALU_DEP_1) | instskip(SKIP_1) | instid1(VALU_DEP_2)
	v_div_fmas_f64 v[6:7], v[6:7], v[8:9], v[10:11]
	v_cmp_gt_f64_e64 vcc_lo, |v[2:3]|, 1.0
	v_div_fixup_f64 v[6:7], v[6:7], |v[2:3]|, 1.0
	s_delay_alu instid0(VALU_DEP_1) | instskip(NEXT) | instid1(VALU_DEP_1)
	v_dual_cndmask_b32 v5, v5, v7 :: v_dual_cndmask_b32 v4, v2, v6
	v_mul_f64_e32 v[6:7], v[4:5], v[4:5]
	s_delay_alu instid0(VALU_DEP_1) | instskip(NEXT) | instid1(VALU_DEP_1)
	v_fmamk_f64 v[8:9], v[6:7], 0x3eeba404b5e68a13, v[24:25]
	v_fmaak_f64 v[8:9], v[6:7], v[8:9], 0x3f4b2bb069efb384
	s_delay_alu instid0(VALU_DEP_1) | instskip(NEXT) | instid1(VALU_DEP_1)
	v_fmaak_f64 v[8:9], v[6:7], v[8:9], 0xbf67952daf56de9b
	v_fmaak_f64 v[8:9], v[6:7], v[8:9], 0x3f7d6d43a595c56f
	s_delay_alu instid0(VALU_DEP_1) | instskip(NEXT) | instid1(VALU_DEP_1)
	v_fmaak_f64 v[8:9], v[6:7], v[8:9], 0xbf8c6ea4a57d9582
	;; [unrolled: 3-line block ×9, first 2 shown]
	v_mul_f64_e32 v[6:7], v[6:7], v[8:9]
	s_delay_alu instid0(VALU_DEP_1) | instskip(NEXT) | instid1(VALU_DEP_1)
	v_fmac_f64_e32 v[4:5], v[4:5], v[6:7]
	v_fma_f64 v[6:7], s[26:27], s[24:25], -v[4:5]
	s_delay_alu instid0(VALU_DEP_1) | instskip(NEXT) | instid1(VALU_DEP_1)
	v_dual_cndmask_b32 v5, v5, v7 :: v_dual_cndmask_b32 v4, v4, v6
	v_bfi_b32 v5, 0x7fffffff, v5, v3
	s_delay_alu instid0(VALU_DEP_1)
	v_add_f64_e32 v[2:3], v[2:3], v[4:5]
.LBB0_76:                               ;   in Loop: Header=BB0_65 Depth=2
	s_delay_alu instid0(VALU_DEP_1)
	v_mov_b64_e32 v[4:5], v[2:3]
.LBB0_77:                               ;   in Loop: Header=BB0_65 Depth=2
	s_delay_alu instid0(VALU_DEP_1) | instskip(NEXT) | instid1(VALU_DEP_1)
	v_add_f64_e32 v[2:3], v[4:5], v[4:5]
                                        ; implicit-def: $vgpr48
                                        ; implicit-def: $vgpr14_vgpr15
                                        ; implicit-def: $vgpr42_vgpr43
	v_cmp_ngt_f64_e64 s2, 0x41d00000, |v[2:3]|
	v_trig_preop_f64 v[8:9], |v[2:3]|, 0
	v_trig_preop_f64 v[6:7], |v[2:3]|, 1
	v_ldexp_f64 v[10:11], |v[2:3]|, 0xffffff80
	v_trig_preop_f64 v[4:5], |v[2:3]|, 2
	v_and_b32_e32 v45, 0x7fffffff, v3
	s_wait_xcnt 0x0
	s_and_saveexec_b32 s0, s2
	s_delay_alu instid0(SALU_CYCLE_1)
	s_xor_b32 s0, exec_lo, s0
	s_cbranch_execz .LBB0_79
; %bb.78:                               ;   in Loop: Header=BB0_65 Depth=2
	v_cmp_le_f64_e64 vcc_lo, 0x7b000000, |v[2:3]|
	s_delay_alu instid0(VALU_DEP_4) | instskip(NEXT) | instid1(VALU_DEP_1)
	v_dual_cndmask_b32 v13, v45, v11 :: v_dual_cndmask_b32 v12, v2, v10
	v_mul_f64_e32 v[14:15], v[8:9], v[12:13]
	v_mul_f64_e32 v[42:43], v[6:7], v[12:13]
	;; [unrolled: 1-line block ×3, first 2 shown]
	s_delay_alu instid0(VALU_DEP_3) | instskip(NEXT) | instid1(VALU_DEP_3)
	v_fma_f64 v[48:49], v[8:9], v[12:13], -v[14:15]
	v_fma_f64 v[60:61], v[6:7], v[12:13], -v[42:43]
	s_delay_alu instid0(VALU_DEP_3) | instskip(NEXT) | instid1(VALU_DEP_3)
	v_fma_f64 v[12:13], v[4:5], v[12:13], -v[58:59]
	v_add_f64_e32 v[50:51], v[42:43], v[48:49]
	s_delay_alu instid0(VALU_DEP_1) | instskip(SKIP_1) | instid1(VALU_DEP_2)
	v_add_f64_e64 v[52:53], v[50:51], -v[42:43]
	v_add_f64_e32 v[56:57], v[14:15], v[50:51]
	v_add_f64_e64 v[54:55], v[50:51], -v[52:53]
	v_add_f64_e64 v[48:49], v[48:49], -v[52:53]
	s_delay_alu instid0(VALU_DEP_3) | instskip(NEXT) | instid1(VALU_DEP_3)
	v_ldexp_f64 v[52:53], v[56:57], -2
	v_add_f64_e64 v[42:43], v[42:43], -v[54:55]
	v_add_f64_e32 v[54:55], v[58:59], v[60:61]
	s_delay_alu instid0(VALU_DEP_3) | instskip(NEXT) | instid1(VALU_DEP_3)
	v_cmp_neq_f64_e64 vcc_lo, 0x7ff00000, |v[52:53]|
	v_add_f64_e32 v[42:43], v[48:49], v[42:43]
	v_fract_f64_e32 v[48:49], v[52:53]
	s_delay_alu instid0(VALU_DEP_1) | instskip(NEXT) | instid1(VALU_DEP_1)
	v_ldexp_f64 v[48:49], v[48:49], 2
	v_dual_add_f64 v[14:15], v[56:57], -v[14:15] :: v_dual_cndmask_b32 v48, 0, v48, vcc_lo
	s_delay_alu instid0(VALU_DEP_1) | instskip(SKIP_1) | instid1(VALU_DEP_1)
	v_dual_add_f64 v[14:15], v[50:51], -v[14:15] :: v_dual_cndmask_b32 v49, 0, v49, vcc_lo
	v_add_f64_e32 v[50:51], v[54:55], v[42:43]
	v_add_f64_e32 v[52:53], v[14:15], v[50:51]
	v_add_f64_e64 v[62:63], v[50:51], -v[54:55]
	s_delay_alu instid0(VALU_DEP_2) | instskip(NEXT) | instid1(VALU_DEP_2)
	v_add_f64_e32 v[56:57], v[52:53], v[48:49]
	v_add_f64_e64 v[68:69], v[50:51], -v[62:63]
	v_add_f64_e64 v[42:43], v[42:43], -v[62:63]
	;; [unrolled: 1-line block ×3, first 2 shown]
	s_delay_alu instid0(VALU_DEP_4) | instskip(SKIP_1) | instid1(VALU_DEP_3)
	v_cmp_gt_f64_e32 vcc_lo, 0, v[56:57]
	v_add_f64_e64 v[56:57], v[54:55], -v[58:59]
	v_add_f64_e64 v[14:15], v[50:51], -v[14:15]
	v_cndmask_b32_e64 v39, 0, 0x40100000, vcc_lo
	s_delay_alu instid0(VALU_DEP_3) | instskip(SKIP_2) | instid1(VALU_DEP_4)
	v_add_f64_e64 v[66:67], v[54:55], -v[56:57]
	v_add_f64_e64 v[56:57], v[60:61], -v[56:57]
	;; [unrolled: 1-line block ×3, first 2 shown]
	v_add_f64_e32 v[48:49], v[48:49], v[38:39]
	s_delay_alu instid0(VALU_DEP_4) | instskip(NEXT) | instid1(VALU_DEP_3)
	v_add_f64_e64 v[60:61], v[58:59], -v[66:67]
	v_add_f64_e32 v[42:43], v[42:43], v[54:55]
	s_delay_alu instid0(VALU_DEP_3) | instskip(NEXT) | instid1(VALU_DEP_3)
	v_add_f64_e32 v[64:65], v[52:53], v[48:49]
	v_add_f64_e32 v[56:57], v[56:57], v[60:61]
	s_delay_alu instid0(VALU_DEP_2) | instskip(NEXT) | instid1(VALU_DEP_2)
	v_cvt_i32_f64_e32 v39, v[64:65]
	v_add_f64_e32 v[42:43], v[56:57], v[42:43]
	s_delay_alu instid0(VALU_DEP_2) | instskip(NEXT) | instid1(VALU_DEP_2)
	v_cvt_f64_i32_e32 v[62:63], v39
	v_add_f64_e32 v[12:13], v[12:13], v[42:43]
	s_delay_alu instid0(VALU_DEP_2) | instskip(NEXT) | instid1(VALU_DEP_2)
	v_add_f64_e64 v[48:49], v[48:49], -v[62:63]
	v_add_f64_e32 v[12:13], v[14:15], v[12:13]
	s_delay_alu instid0(VALU_DEP_2) | instskip(NEXT) | instid1(VALU_DEP_1)
	v_add_f64_e32 v[54:55], v[52:53], v[48:49]
	v_add_f64_e64 v[42:43], v[54:55], -v[48:49]
	v_cmp_le_f64_e32 vcc_lo, 0.5, v[54:55]
	s_delay_alu instid0(VALU_DEP_2) | instskip(SKIP_2) | instid1(VALU_DEP_3)
	v_add_f64_e64 v[14:15], v[52:53], -v[42:43]
	v_add_co_ci_u32_e64 v48, null, 0, v39, vcc_lo
	v_cndmask_b32_e64 v39, 0, 0x3ff00000, vcc_lo
	v_add_f64_e32 v[12:13], v[12:13], v[14:15]
	s_delay_alu instid0(VALU_DEP_2) | instskip(NEXT) | instid1(VALU_DEP_1)
	v_add_f64_e64 v[14:15], v[54:55], -v[38:39]
	v_add_f64_e32 v[42:43], v[14:15], v[12:13]
	s_delay_alu instid0(VALU_DEP_1) | instskip(SKIP_1) | instid1(VALU_DEP_2)
	v_mul_f64_e32 v[50:51], 0x3ff921fb54442d18, v[42:43]
	v_add_f64_e64 v[14:15], v[42:43], -v[14:15]
	v_fma_f64 v[52:53], v[42:43], s[28:29], -v[50:51]
	s_delay_alu instid0(VALU_DEP_2) | instskip(NEXT) | instid1(VALU_DEP_2)
	v_add_f64_e64 v[12:13], v[12:13], -v[14:15]
	v_fmac_f64_e32 v[52:53], 0x3c91a62633145c07, v[42:43]
	s_delay_alu instid0(VALU_DEP_1) | instskip(NEXT) | instid1(VALU_DEP_1)
	v_fmac_f64_e32 v[52:53], 0x3ff921fb54442d18, v[12:13]
	v_add_f64_e32 v[14:15], v[50:51], v[52:53]
	s_delay_alu instid0(VALU_DEP_1) | instskip(NEXT) | instid1(VALU_DEP_1)
	v_add_f64_e64 v[12:13], v[14:15], -v[50:51]
	v_add_f64_e64 v[42:43], v[52:53], -v[12:13]
.LBB0_79:                               ;   in Loop: Header=BB0_65 Depth=2
	s_or_saveexec_b32 s0, s0
	v_mul_f64_e64 v[12:13], |v[2:3]|, s[30:31]
	s_delay_alu instid0(VALU_DEP_1)
	v_rndne_f64_e32 v[12:13], v[12:13]
	s_xor_b32 exec_lo, exec_lo, s0
	s_cbranch_execz .LBB0_81
; %bb.80:                               ;   in Loop: Header=BB0_65 Depth=2
	s_delay_alu instid0(VALU_DEP_1) | instskip(SKIP_1) | instid1(VALU_DEP_2)
	v_fma_f64 v[14:15], v[12:13], s[34:35], |v[2:3]|
	v_mul_f64_e32 v[42:43], 0xbc91a62633145c00, v[12:13]
	v_fmamk_f64 v[52:53], v[12:13], 0xbc91a62633145c00, v[14:15]
	s_delay_alu instid0(VALU_DEP_2) | instskip(NEXT) | instid1(VALU_DEP_1)
	v_add_f64_e32 v[48:49], v[14:15], v[42:43]
	v_add_f64_e64 v[50:51], v[14:15], -v[48:49]
	s_delay_alu instid0(VALU_DEP_3) | instskip(NEXT) | instid1(VALU_DEP_2)
	v_add_f64_e64 v[14:15], v[48:49], -v[52:53]
	v_add_f64_e32 v[48:49], v[50:51], v[42:43]
	v_fmamk_f64 v[42:43], v[12:13], 0x3c91a62633145c00, v[42:43]
	s_delay_alu instid0(VALU_DEP_2) | instskip(NEXT) | instid1(VALU_DEP_1)
	v_add_f64_e32 v[14:15], v[14:15], v[48:49]
	v_add_f64_e64 v[42:43], v[14:15], -v[42:43]
	s_delay_alu instid0(VALU_DEP_1) | instskip(NEXT) | instid1(VALU_DEP_1)
	v_fmac_f64_e32 v[42:43], 0xb97b839a252049c0, v[12:13]
	v_add_f64_e32 v[14:15], v[52:53], v[42:43]
	s_delay_alu instid0(VALU_DEP_1) | instskip(NEXT) | instid1(VALU_DEP_1)
	v_add_f64_e64 v[48:49], v[14:15], -v[52:53]
	v_add_f64_e64 v[42:43], v[42:43], -v[48:49]
	v_cvt_i32_f64_e32 v48, v[12:13]
.LBB0_81:                               ;   in Loop: Header=BB0_65 Depth=2
	s_or_b32 exec_lo, exec_lo, s0
	s_delay_alu instid0(VALU_DEP_1) | instskip(NEXT) | instid1(VALU_DEP_3)
	v_dual_mul_f64 v[50:51], v[14:15], v[14:15] :: v_dual_bitop2_b32 v39, 1, v48 bitop3:0x40
	v_mul_f64_e32 v[56:57], 0.5, v[42:43]
	v_cmp_class_f64_e64 vcc_lo, v[2:3], 0x1f8
	s_delay_alu instid0(VALU_DEP_3) | instskip(SKIP_4) | instid1(VALU_DEP_1)
	v_cmp_eq_u32_e64 s0, 0, v39
	v_lshlrev_b32_e32 v39, 30, v48
                                        ; implicit-def: $vgpr48
	v_mul_f64_e32 v[52:53], 0.5, v[50:51]
	v_mul_f64_e64 v[58:59], v[14:15], -v[50:51]
	v_fmamk_f64 v[62:63], v[50:51], 0x3de5e0b2f9a43bb8, v[34:35]
	v_fmaak_f64 v[62:63], v[50:51], v[62:63], 0x3ec71de3796cde01
	s_delay_alu instid0(VALU_DEP_1) | instskip(NEXT) | instid1(VALU_DEP_1)
	v_fmaak_f64 v[62:63], v[50:51], v[62:63], 0xbf2a01a019e83e5c
	v_fmaak_f64 v[62:63], v[50:51], v[62:63], 0x3f81111111110bb3
	v_add_f64_e64 v[54:55], -v[52:53], 1.0
	s_delay_alu instid0(VALU_DEP_2) | instskip(SKIP_1) | instid1(VALU_DEP_3)
	v_fmac_f64_e32 v[56:57], v[58:59], v[62:63]
	v_mul_f64_e32 v[62:63], v[50:51], v[50:51]
	v_add_f64_e64 v[60:61], -v[54:55], 1.0
	s_delay_alu instid0(VALU_DEP_3) | instskip(NEXT) | instid1(VALU_DEP_2)
	v_fma_f64 v[56:57], v[50:51], v[56:57], -v[42:43]
	v_add_f64_e64 v[52:53], v[60:61], -v[52:53]
	v_fmamk_f64 v[60:61], v[50:51], 0xbda907db46cc5e42, v[32:33]
	s_delay_alu instid0(VALU_DEP_3) | instskip(NEXT) | instid1(VALU_DEP_3)
	v_fmac_f64_e32 v[56:57], 0xbfc5555555555555, v[58:59]
	v_fma_f64 v[42:43], v[14:15], -v[42:43], v[52:53]
	s_delay_alu instid0(VALU_DEP_3) | instskip(NEXT) | instid1(VALU_DEP_3)
	v_fmaak_f64 v[52:53], v[50:51], v[60:61], 0xbe927e4fa17f65f6
	v_add_f64_e64 v[14:15], v[14:15], -v[56:57]
	s_delay_alu instid0(VALU_DEP_2) | instskip(NEXT) | instid1(VALU_DEP_1)
	v_fmaak_f64 v[52:53], v[50:51], v[52:53], 0x3efa01a019f4ec90
	v_fmaak_f64 v[52:53], v[50:51], v[52:53], 0xbf56c16c16c16967
	s_delay_alu instid0(VALU_DEP_1) | instskip(NEXT) | instid1(VALU_DEP_1)
	v_fmaak_f64 v[50:51], v[50:51], v[52:53], 0x3fa5555555555555
	v_fmac_f64_e32 v[42:43], v[62:63], v[50:51]
	v_xor_b32_e32 v15, 0x80000000, v15
	s_delay_alu instid0(VALU_DEP_2) | instskip(NEXT) | instid1(VALU_DEP_1)
	v_add_f64_e32 v[42:43], v[54:55], v[42:43]
	v_dual_cndmask_b32 v15, v15, v43, s0 :: v_dual_cndmask_b32 v14, v14, v42, s0
                                        ; implicit-def: $vgpr42_vgpr43
	s_delay_alu instid0(VALU_DEP_1) | instskip(NEXT) | instid1(VALU_DEP_2)
	v_bitop3_b32 v15, v15, v39, 0x80000000 bitop3:0x78
	v_cndmask_b32_e32 v14, 0, v14, vcc_lo
	s_delay_alu instid0(VALU_DEP_2) | instskip(SKIP_2) | instid1(SALU_CYCLE_1)
	v_cndmask_b32_e32 v15, 0x7ff80000, v15, vcc_lo
	ds_store_b64 v44, v[14:15]
                                        ; implicit-def: $vgpr14_vgpr15
	s_and_saveexec_b32 s0, s2
	s_xor_b32 s2, exec_lo, s0
	s_cbranch_execz .LBB0_83
; %bb.82:                               ;   in Loop: Header=BB0_65 Depth=2
	v_cmp_le_f64_e64 s0, 0x7b000000, |v[2:3]|
	s_delay_alu instid0(VALU_DEP_1) | instskip(NEXT) | instid1(VALU_DEP_1)
	v_dual_cndmask_b32 v11, v45, v11, s0 :: v_dual_cndmask_b32 v10, v2, v10, s0
	v_mul_f64_e32 v[12:13], v[8:9], v[10:11]
	v_mul_f64_e32 v[14:15], v[6:7], v[10:11]
	;; [unrolled: 1-line block ×3, first 2 shown]
	s_delay_alu instid0(VALU_DEP_3) | instskip(NEXT) | instid1(VALU_DEP_3)
	v_fma_f64 v[8:9], v[8:9], v[10:11], -v[12:13]
	v_fma_f64 v[6:7], v[6:7], v[10:11], -v[14:15]
	s_delay_alu instid0(VALU_DEP_3) | instskip(NEXT) | instid1(VALU_DEP_3)
	v_fma_f64 v[4:5], v[4:5], v[10:11], -v[54:55]
	v_add_f64_e32 v[42:43], v[14:15], v[8:9]
	s_delay_alu instid0(VALU_DEP_1) | instskip(SKIP_1) | instid1(VALU_DEP_2)
	v_add_f64_e64 v[48:49], v[42:43], -v[14:15]
	v_add_f64_e32 v[52:53], v[12:13], v[42:43]
	v_add_f64_e64 v[50:51], v[42:43], -v[48:49]
	v_add_f64_e64 v[8:9], v[8:9], -v[48:49]
	s_delay_alu instid0(VALU_DEP_3) | instskip(SKIP_1) | instid1(VALU_DEP_4)
	v_ldexp_f64 v[48:49], v[52:53], -2
	v_add_f64_e64 v[12:13], v[52:53], -v[12:13]
	v_add_f64_e64 v[14:15], v[14:15], -v[50:51]
	v_add_f64_e32 v[50:51], v[54:55], v[6:7]
	s_delay_alu instid0(VALU_DEP_4) | instskip(NEXT) | instid1(VALU_DEP_3)
	v_cmp_neq_f64_e64 s0, 0x7ff00000, |v[48:49]|
	v_add_f64_e32 v[8:9], v[8:9], v[14:15]
	v_fract_f64_e32 v[14:15], v[48:49]
	s_delay_alu instid0(VALU_DEP_1) | instskip(NEXT) | instid1(VALU_DEP_1)
	v_ldexp_f64 v[14:15], v[14:15], 2
	v_dual_add_f64 v[12:13], v[42:43], -v[12:13] :: v_dual_cndmask_b32 v15, 0, v15, s0
	s_delay_alu instid0(VALU_DEP_2) | instskip(NEXT) | instid1(VALU_DEP_1)
	v_dual_add_f64 v[42:43], v[50:51], v[8:9] :: v_dual_cndmask_b32 v14, 0, v14, s0
	v_add_f64_e32 v[48:49], v[12:13], v[42:43]
	v_add_f64_e64 v[56:57], v[42:43], -v[50:51]
	s_delay_alu instid0(VALU_DEP_2) | instskip(NEXT) | instid1(VALU_DEP_2)
	v_add_f64_e32 v[52:53], v[48:49], v[14:15]
	v_add_f64_e64 v[62:63], v[42:43], -v[56:57]
	v_add_f64_e64 v[8:9], v[8:9], -v[56:57]
	;; [unrolled: 1-line block ×3, first 2 shown]
	s_delay_alu instid0(VALU_DEP_4) | instskip(SKIP_1) | instid1(VALU_DEP_3)
	v_cmp_gt_f64_e64 s0, 0, v[52:53]
	v_add_f64_e64 v[52:53], v[50:51], -v[54:55]
	v_add_f64_e64 v[10:11], v[42:43], -v[10:11]
	s_delay_alu instid0(VALU_DEP_3) | instskip(NEXT) | instid1(VALU_DEP_3)
	v_cndmask_b32_e64 v39, 0, 0x40100000, s0
	v_add_f64_e64 v[60:61], v[50:51], -v[52:53]
	v_add_f64_e64 v[6:7], v[6:7], -v[52:53]
	;; [unrolled: 1-line block ×3, first 2 shown]
	s_delay_alu instid0(VALU_DEP_4) | instskip(NEXT) | instid1(VALU_DEP_4)
	v_add_f64_e32 v[14:15], v[14:15], v[38:39]
	v_add_f64_e64 v[52:53], v[54:55], -v[60:61]
	s_delay_alu instid0(VALU_DEP_3) | instskip(NEXT) | instid1(VALU_DEP_3)
	v_add_f64_e32 v[8:9], v[8:9], v[50:51]
	v_add_f64_e32 v[58:59], v[48:49], v[14:15]
	s_delay_alu instid0(VALU_DEP_3) | instskip(NEXT) | instid1(VALU_DEP_2)
	v_add_f64_e32 v[6:7], v[6:7], v[52:53]
	v_cvt_i32_f64_e32 v39, v[58:59]
	s_delay_alu instid0(VALU_DEP_2) | instskip(NEXT) | instid1(VALU_DEP_2)
	v_add_f64_e32 v[6:7], v[6:7], v[8:9]
	v_cvt_f64_i32_e32 v[56:57], v39
	s_delay_alu instid0(VALU_DEP_2) | instskip(NEXT) | instid1(VALU_DEP_2)
	v_add_f64_e32 v[4:5], v[4:5], v[6:7]
	v_add_f64_e64 v[14:15], v[14:15], -v[56:57]
	s_delay_alu instid0(VALU_DEP_2) | instskip(NEXT) | instid1(VALU_DEP_2)
	v_add_f64_e32 v[4:5], v[10:11], v[4:5]
	v_add_f64_e32 v[8:9], v[48:49], v[14:15]
	s_delay_alu instid0(VALU_DEP_1) | instskip(SKIP_1) | instid1(VALU_DEP_2)
	v_add_f64_e64 v[6:7], v[8:9], -v[14:15]
	v_cmp_le_f64_e64 s0, 0.5, v[8:9]
	v_add_f64_e64 v[6:7], v[48:49], -v[6:7]
	s_delay_alu instid0(VALU_DEP_2) | instskip(SKIP_1) | instid1(VALU_DEP_3)
	v_add_co_ci_u32_e64 v48, null, 0, v39, s0
	v_cndmask_b32_e64 v39, 0, 0x3ff00000, s0
	v_add_f64_e32 v[4:5], v[4:5], v[6:7]
	s_delay_alu instid0(VALU_DEP_2) | instskip(NEXT) | instid1(VALU_DEP_1)
	v_add_f64_e64 v[6:7], v[8:9], -v[38:39]
	v_add_f64_e32 v[8:9], v[6:7], v[4:5]
	s_delay_alu instid0(VALU_DEP_1) | instskip(SKIP_1) | instid1(VALU_DEP_2)
	v_mul_f64_e32 v[10:11], 0x3ff921fb54442d18, v[8:9]
	v_add_f64_e64 v[6:7], v[8:9], -v[6:7]
	v_fma_f64 v[12:13], v[8:9], s[28:29], -v[10:11]
	s_delay_alu instid0(VALU_DEP_2) | instskip(NEXT) | instid1(VALU_DEP_2)
	v_add_f64_e64 v[4:5], v[4:5], -v[6:7]
	v_fmac_f64_e32 v[12:13], 0x3c91a62633145c07, v[8:9]
	s_delay_alu instid0(VALU_DEP_1) | instskip(NEXT) | instid1(VALU_DEP_1)
	v_fmac_f64_e32 v[12:13], 0x3ff921fb54442d18, v[4:5]
	v_add_f64_e32 v[14:15], v[10:11], v[12:13]
	s_delay_alu instid0(VALU_DEP_1) | instskip(NEXT) | instid1(VALU_DEP_1)
	v_add_f64_e64 v[4:5], v[14:15], -v[10:11]
	v_add_f64_e64 v[42:43], v[12:13], -v[4:5]
                                        ; implicit-def: $vgpr12_vgpr13
.LBB0_83:                               ;   in Loop: Header=BB0_65 Depth=2
	s_and_not1_saveexec_b32 s0, s2
	s_cbranch_execz .LBB0_64
; %bb.84:                               ;   in Loop: Header=BB0_65 Depth=2
	v_fma_f64 v[4:5], v[12:13], s[34:35], |v[2:3]|
	v_mul_f64_e32 v[6:7], 0xbc91a62633145c00, v[12:13]
	v_cvt_i32_f64_e32 v48, v[12:13]
	s_delay_alu instid0(VALU_DEP_2) | instskip(NEXT) | instid1(VALU_DEP_1)
	v_add_f64_e32 v[8:9], v[4:5], v[6:7]
	v_add_f64_e64 v[10:11], v[4:5], -v[8:9]
	v_fmamk_f64 v[4:5], v[12:13], 0xbc91a62633145c00, v[4:5]
	s_delay_alu instid0(VALU_DEP_1) | instskip(NEXT) | instid1(VALU_DEP_3)
	v_add_f64_e64 v[8:9], v[8:9], -v[4:5]
	v_add_f64_e32 v[10:11], v[10:11], v[6:7]
	v_fmamk_f64 v[6:7], v[12:13], 0x3c91a62633145c00, v[6:7]
	s_delay_alu instid0(VALU_DEP_2) | instskip(NEXT) | instid1(VALU_DEP_1)
	v_add_f64_e32 v[8:9], v[8:9], v[10:11]
	v_add_f64_e64 v[6:7], v[8:9], -v[6:7]
	s_delay_alu instid0(VALU_DEP_1) | instskip(NEXT) | instid1(VALU_DEP_1)
	v_fmac_f64_e32 v[6:7], 0xb97b839a252049c0, v[12:13]
	v_add_f64_e32 v[14:15], v[4:5], v[6:7]
	s_delay_alu instid0(VALU_DEP_1) | instskip(NEXT) | instid1(VALU_DEP_1)
	v_add_f64_e64 v[4:5], v[14:15], -v[4:5]
	v_add_f64_e64 v[42:43], v[6:7], -v[4:5]
	s_branch .LBB0_64
.LBB0_85:                               ;   in Loop: Header=BB0_34 Depth=1
	v_mad_u32 v0, v41, s7, v47
	v_cmp_eq_u32_e32 vcc_lo, v46, v47
	s_mov_b32 s36, exec_lo
	s_delay_alu instid0(VALU_DEP_2) | instskip(NEXT) | instid1(VALU_DEP_1)
	v_subrev_co_ci_u32_e64 v0, null, 0, v0, vcc_lo
	v_ashrrev_i32_e32 v1, 31, v0
	s_delay_alu instid0(VALU_DEP_1) | instskip(NEXT) | instid1(VALU_DEP_1)
	v_lshlrev_b64_e32 v[0:1], 5, v[0:1]
	v_add_nc_u64_e32 v[8:9], s[10:11], v[0:1]
	s_clause 0x1
	global_load_b128 v[4:7], v[8:9], off
	global_load_b128 v[0:3], v[8:9], off offset:16
	s_wait_loadcnt 0x1
	v_mul_f64_e32 v[44:45], v[18:19], v[4:5]
	v_mul_f64_e32 v[42:43], v[18:19], v[6:7]
	s_wait_loadcnt 0x0
	v_mul_f64_e32 v[0:1], v[18:19], v[0:1]
	v_cmpx_lt_i32_e64 v2, v3
	s_cbranch_execz .LBB0_32
; %bb.86:                               ;   in Loop: Header=BB0_34 Depth=1
	v_mul_lo_u32 v41, v41, s16
	s_mov_b32 s37, 0
	s_branch .LBB0_88
.LBB0_87:                               ;   in Loop: Header=BB0_88 Depth=2
	s_or_b32 exec_lo, exec_lo, s38
	s_wait_loadcnt 0x0
	v_bfe_i32 v39, v86, 0, 16
	s_delay_alu instid0(VALU_DEP_2) | instskip(SKIP_1) | instid1(VALU_DEP_3)
	v_mul_f64_e32 v[14:15], v[14:15], v[52:53]
	v_dual_mul_f64 v[6:7], v[6:7], v[52:53] :: v_dual_add_nc_u32 v2, 1, v2
	v_lshl_add_u32 v39, v39, 4, v84
	s_delay_alu instid0(VALU_DEP_2)
	v_cmp_ge_i32_e32 vcc_lo, v2, v3
	ds_load_b128 v[46:49], v39
	s_or_b32 s37, vcc_lo, s37
	s_wait_dscnt 0x0
	v_mul_f64_e32 v[54:55], v[50:51], v[48:49]
	v_mul_f64_e32 v[48:49], v[52:53], v[48:49]
	v_fma_f64 v[12:13], v[12:13], v[50:51], -v[14:15]
	v_fma_f64 v[4:5], v[4:5], v[50:51], -v[6:7]
	s_delay_alu instid0(VALU_DEP_4) | instskip(NEXT) | instid1(VALU_DEP_4)
	v_fmac_f64_e32 v[54:55], v[52:53], v[46:47]
	v_fma_f64 v[46:47], v[50:51], v[46:47], -v[48:49]
	s_delay_alu instid0(VALU_DEP_4) | instskip(NEXT) | instid1(VALU_DEP_4)
	v_add_f64_e32 v[42:43], v[42:43], v[12:13]
	v_add_f64_e32 v[0:1], v[0:1], v[4:5]
	s_delay_alu instid0(VALU_DEP_4) | instskip(NEXT) | instid1(VALU_DEP_1)
	v_mul_f64_e32 v[10:11], v[10:11], v[54:55]
	v_fma_f64 v[8:9], v[8:9], v[46:47], -v[10:11]
	s_delay_alu instid0(VALU_DEP_1)
	v_add_f64_e32 v[44:45], v[44:45], v[8:9]
	s_and_not1_b32 exec_lo, exec_lo, s37
	s_cbranch_execz .LBB0_31
.LBB0_88:                               ;   Parent Loop BB0_34 Depth=1
                                        ; =>  This Loop Header: Depth=2
                                        ;       Child Loop BB0_100 Depth 3
	s_delay_alu instid0(VALU_DEP_1) | instskip(NEXT) | instid1(VALU_DEP_1)
	v_add_nc_u32_e32 v4, v2, v41
	v_mad_nc_i64_i32 v[50:51], 0x48, v4, s[22:23]
	global_load_b128 v[4:7], v[50:51], off
	s_wait_loadcnt 0x0
	v_add_f64_e64 v[6:7], -v[6:7], 0
	v_add_f64_e64 v[4:5], v[18:19], -v[4:5]
	s_delay_alu instid0(VALU_DEP_2) | instskip(SKIP_1) | instid1(VALU_DEP_2)
	v_mul_f64_e32 v[48:49], 0.5, v[6:7]
	v_mul_f64_e32 v[6:7], 0, v[6:7]
	v_fmac_f64_e32 v[48:49], 0, v[4:5]
	s_delay_alu instid0(VALU_DEP_2) | instskip(NEXT) | instid1(VALU_DEP_2)
	v_fma_f64 v[46:47], v[4:5], 0.5, -v[6:7]
	v_mul_f64_e32 v[52:53], v[48:49], v[48:49]
	s_delay_alu instid0(VALU_DEP_1) | instskip(NEXT) | instid1(VALU_DEP_1)
	v_fma_f64 v[4:5], v[46:47], v[46:47], v[52:53]
	v_cmp_gt_f64_e32 vcc_lo, 0x10000000, v[4:5]
	v_cndmask_b32_e64 v6, 0, 0x100, vcc_lo
	v_cndmask_b32_e64 v39, 0, 0xffffff80, vcc_lo
	s_delay_alu instid0(VALU_DEP_2)
	v_ldexp_f64 v[54:55], v[4:5], v6
	s_clause 0x3
	global_load_b128 v[8:11], v[50:51], off offset:16
	global_load_b128 v[4:7], v[50:51], off offset:48
	;; [unrolled: 1-line block ×3, first 2 shown]
	global_load_u16 v86, v[50:51], off offset:64
	v_rsq_f64_e32 v[56:57], v[54:55]
	v_cmp_class_f64_e64 vcc_lo, v[54:55], 0x260
	s_wait_xcnt 0x0
	s_delay_alu instid0(TRANS32_DEP_1) | instskip(SKIP_1) | instid1(VALU_DEP_1)
	v_mul_f64_e32 v[50:51], v[54:55], v[56:57]
	v_mul_f64_e32 v[56:57], 0.5, v[56:57]
	v_fma_f64 v[58:59], -v[56:57], v[50:51], 0.5
	s_delay_alu instid0(VALU_DEP_1) | instskip(SKIP_1) | instid1(VALU_DEP_2)
	v_fmac_f64_e32 v[50:51], v[50:51], v[58:59]
	v_fmac_f64_e32 v[56:57], v[56:57], v[58:59]
	v_fma_f64 v[58:59], -v[50:51], v[50:51], v[54:55]
	s_delay_alu instid0(VALU_DEP_1) | instskip(NEXT) | instid1(VALU_DEP_1)
	v_fmac_f64_e32 v[50:51], v[58:59], v[56:57]
	v_fma_f64 v[58:59], -v[50:51], v[50:51], v[54:55]
	s_delay_alu instid0(VALU_DEP_1) | instskip(SKIP_2) | instid1(VALU_DEP_3)
	v_fmac_f64_e32 v[50:51], v[58:59], v[56:57]
	v_mul_f64_e32 v[56:57], v[46:47], v[46:47]
	v_mul_f64_e32 v[58:59], v[46:47], v[48:49]
	v_ldexp_f64 v[50:51], v[50:51], v39
	s_delay_alu instid0(VALU_DEP_1) | instskip(NEXT) | instid1(VALU_DEP_4)
	v_dual_cndmask_b32 v51, v51, v55 :: v_dual_cndmask_b32 v50, v50, v54
	v_add_f64_e64 v[56:57], v[56:57], -v[52:53]
	s_delay_alu instid0(VALU_DEP_4) | instskip(NEXT) | instid1(VALU_DEP_3)
	v_add_f64_e32 v[54:55], v[58:59], v[58:59]
                                        ; implicit-def: $vgpr52_vgpr53
	v_cmp_ngt_f64_e32 vcc_lo, 0x40180000, v[50:51]
                                        ; implicit-def: $vgpr50_vgpr51
	s_and_saveexec_b32 s0, vcc_lo
	s_delay_alu instid0(SALU_CYCLE_1)
	s_xor_b32 s3, exec_lo, s0
	s_cbranch_execz .LBB0_90
; %bb.89:                               ;   in Loop: Header=BB0_88 Depth=2
	s_delay_alu instid0(VALU_DEP_3) | instskip(NEXT) | instid1(VALU_DEP_3)
	v_add_f64_e32 v[50:51], 0xbfd19dc7afdb7b46, v[56:57]
	v_mul_f64_e32 v[52:53], v[54:55], v[54:55]
	v_mul_f64_e32 v[58:59], 0x3fe065c77cdfff0d, v[54:55]
	;; [unrolled: 1-line block ×3, first 2 shown]
	v_add_f64_e32 v[56:57], 0xc005cc470a049097, v[56:57]
	v_mul_f64_e32 v[54:55], 0x3faa80fd3629c600, v[54:55]
	v_fma_f64 v[62:63], v[50:51], v[50:51], v[52:53]
	v_fma_f64 v[58:59], v[50:51], 0, -v[58:59]
	v_fmamk_f64 v[50:51], v[50:51], 0x3fe065c77cdfff0d, v[60:61]
	v_fmac_f64_e32 v[52:53], v[56:57], v[56:57]
	v_fmac_f64_e32 v[60:61], 0x3faa80fd3629c600, v[56:57]
	v_fma_f64 v[54:55], v[56:57], 0, -v[54:55]
	s_delay_alu instid0(VALU_DEP_4) | instskip(SKIP_1) | instid1(VALU_DEP_4)
	v_div_scale_f64 v[56:57], null, v[62:63], v[62:63], v[50:51]
	v_div_scale_f64 v[64:65], null, v[62:63], v[62:63], v[58:59]
	;; [unrolled: 1-line block ×3, first 2 shown]
	s_delay_alu instid0(VALU_DEP_4) | instskip(SKIP_2) | instid1(VALU_DEP_4)
	v_div_scale_f64 v[68:69], null, v[52:53], v[52:53], v[54:55]
	v_div_scale_f64 v[92:93], vcc_lo, v[50:51], v[62:63], v[50:51]
	v_rcp_f64_e32 v[70:71], v[56:57]
	v_rcp_f64_e32 v[72:73], v[64:65]
	s_delay_alu instid0(VALU_DEP_3) | instskip(NEXT) | instid1(VALU_DEP_2)
	v_rcp_f64_e32 v[74:75], v[66:67]
	v_rcp_f64_e32 v[76:77], v[68:69]
	v_fma_f64 v[78:79], -v[56:57], v[70:71], 1.0
	s_delay_alu instid0(TRANS32_DEP_3) | instskip(NEXT) | instid1(TRANS32_DEP_2)
	v_fma_f64 v[80:81], -v[64:65], v[72:73], 1.0
	v_fma_f64 v[88:89], -v[66:67], v[74:75], 1.0
	s_delay_alu instid0(TRANS32_DEP_1) | instskip(NEXT) | instid1(VALU_DEP_4)
	v_fma_f64 v[90:91], -v[68:69], v[76:77], 1.0
	v_fmac_f64_e32 v[70:71], v[70:71], v[78:79]
	s_delay_alu instid0(VALU_DEP_4) | instskip(NEXT) | instid1(VALU_DEP_4)
	v_fmac_f64_e32 v[72:73], v[72:73], v[80:81]
	v_fmac_f64_e32 v[74:75], v[74:75], v[88:89]
	s_delay_alu instid0(VALU_DEP_4) | instskip(NEXT) | instid1(VALU_DEP_4)
	v_fmac_f64_e32 v[76:77], v[76:77], v[90:91]
	v_fma_f64 v[78:79], -v[56:57], v[70:71], 1.0
	s_delay_alu instid0(VALU_DEP_4) | instskip(NEXT) | instid1(VALU_DEP_4)
	v_fma_f64 v[80:81], -v[64:65], v[72:73], 1.0
	v_fma_f64 v[88:89], -v[66:67], v[74:75], 1.0
	s_delay_alu instid0(VALU_DEP_4) | instskip(NEXT) | instid1(VALU_DEP_4)
	v_fma_f64 v[90:91], -v[68:69], v[76:77], 1.0
	v_fmac_f64_e32 v[70:71], v[70:71], v[78:79]
	v_div_scale_f64 v[78:79], s0, v[58:59], v[62:63], v[58:59]
	v_fmac_f64_e32 v[72:73], v[72:73], v[80:81]
	v_div_scale_f64 v[80:81], s1, v[60:61], v[52:53], v[60:61]
	;; [unrolled: 2-line block ×3, first 2 shown]
	v_fmac_f64_e32 v[76:77], v[76:77], v[90:91]
	v_mul_f64_e32 v[90:91], v[92:93], v[70:71]
	v_mul_f64_e32 v[94:95], v[78:79], v[72:73]
	;; [unrolled: 1-line block ×3, first 2 shown]
	s_delay_alu instid0(VALU_DEP_4) | instskip(NEXT) | instid1(VALU_DEP_4)
	v_mul_f64_e32 v[98:99], v[88:89], v[76:77]
	v_fma_f64 v[56:57], -v[56:57], v[90:91], v[92:93]
	s_delay_alu instid0(VALU_DEP_4) | instskip(NEXT) | instid1(VALU_DEP_4)
	v_fma_f64 v[64:65], -v[64:65], v[94:95], v[78:79]
	v_fma_f64 v[66:67], -v[66:67], v[96:97], v[80:81]
	s_delay_alu instid0(VALU_DEP_4) | instskip(NEXT) | instid1(VALU_DEP_4)
	v_fma_f64 v[68:69], -v[68:69], v[98:99], v[88:89]
	v_div_fmas_f64 v[56:57], v[56:57], v[70:71], v[90:91]
	s_mov_b32 vcc_lo, s0
	s_delay_alu instid0(VALU_DEP_4) | instskip(SKIP_1) | instid1(VALU_DEP_4)
	v_div_fmas_f64 v[64:65], v[64:65], v[72:73], v[94:95]
	s_mov_b32 vcc_lo, s1
	v_div_fmas_f64 v[66:67], v[66:67], v[74:75], v[96:97]
	s_mov_b32 vcc_lo, s2
	s_delay_alu instid0(VALU_DEP_4) | instskip(NEXT) | instid1(VALU_DEP_3)
	v_div_fmas_f64 v[68:69], v[68:69], v[76:77], v[98:99]
	v_div_fixup_f64 v[58:59], v[64:65], v[62:63], v[58:59]
	v_fma_f64 v[64:65], v[46:47], 0, -v[48:49]
	v_fmac_f64_e32 v[46:47], 0, v[48:49]
	v_div_fixup_f64 v[48:49], v[56:57], v[62:63], v[50:51]
	v_div_fixup_f64 v[50:51], v[66:67], v[52:53], v[60:61]
                                        ; implicit-def: $vgpr56_vgpr57
	v_div_fixup_f64 v[54:55], v[68:69], v[52:53], v[54:55]
	s_delay_alu instid0(VALU_DEP_2) | instskip(NEXT) | instid1(VALU_DEP_2)
	v_add_f64_e32 v[48:49], v[48:49], v[50:51]
	v_add_f64_e32 v[52:53], v[58:59], v[54:55]
                                        ; implicit-def: $vgpr54_vgpr55
	s_delay_alu instid0(VALU_DEP_1) | instskip(SKIP_1) | instid1(VALU_DEP_2)
	v_mul_f64_e32 v[50:51], v[46:47], v[52:53]
	v_mul_f64_e32 v[52:53], v[64:65], v[52:53]
	v_fma_f64 v[50:51], v[64:65], v[48:49], -v[50:51]
	s_delay_alu instid0(VALU_DEP_2)
	v_fmac_f64_e32 v[52:53], v[46:47], v[48:49]
                                        ; implicit-def: $vgpr48_vgpr49
                                        ; implicit-def: $vgpr46_vgpr47
.LBB0_90:                               ;   in Loop: Header=BB0_88 Depth=2
	s_and_not1_saveexec_b32 s38, s3
	s_cbranch_execz .LBB0_87
; %bb.91:                               ;   in Loop: Header=BB0_88 Depth=2
	v_mul_f64_e32 v[50:51], 0, v[48:49]
                                        ; implicit-def: $vgpr87
                                        ; implicit-def: $vgpr58_vgpr59
                                        ; implicit-def: $vgpr60_vgpr61
	s_delay_alu instid0(VALU_DEP_1) | instskip(NEXT) | instid1(VALU_DEP_1)
	v_fmamk_f64 v[52:53], v[46:47], 0x40280000, v[50:51]
	v_cmp_gt_f64_e64 vcc_lo, 0x41d00000, |v[52:53]|
	v_cmp_ngt_f64_e64 s1, 0x41d00000, |v[52:53]|
	v_trig_preop_f64 v[70:71], |v[52:53]|, 0
	v_trig_preop_f64 v[68:69], |v[52:53]|, 1
	v_ldexp_f64 v[72:73], |v[52:53]|, 0xffffff80
	v_trig_preop_f64 v[66:67], |v[52:53]|, 2
	v_and_b32_e32 v80, 0x7fffffff, v53
	s_and_saveexec_b32 s0, s1
	s_delay_alu instid0(SALU_CYCLE_1)
	s_xor_b32 s2, exec_lo, s0
	s_cbranch_execz .LBB0_93
; %bb.92:                               ;   in Loop: Header=BB0_88 Depth=2
	v_ldexp_f64 v[58:59], |v[52:53]|, 0xffffff80
	v_cmp_le_f64_e64 s0, 0x7b000000, |v[52:53]|
	v_trig_preop_f64 v[60:61], |v[52:53]|, 0
	v_trig_preop_f64 v[62:63], |v[52:53]|, 1
	;; [unrolled: 1-line block ×3, first 2 shown]
	s_delay_alu instid0(VALU_DEP_4) | instskip(SKIP_1) | instid1(VALU_DEP_1)
	v_cndmask_b32_e64 v59, v80, v59, s0
	v_cndmask_b32_e64 v58, v52, v58, s0
	v_mul_f64_e32 v[64:65], v[60:61], v[58:59]
	v_mul_f64_e32 v[74:75], v[62:63], v[58:59]
	s_delay_alu instid0(VALU_DEP_2) | instskip(NEXT) | instid1(VALU_DEP_1)
	v_fma_f64 v[60:61], v[60:61], v[58:59], -v[64:65]
	v_add_f64_e32 v[76:77], v[74:75], v[60:61]
	v_fma_f64 v[62:63], v[62:63], v[58:59], -v[74:75]
	v_mul_f64_e32 v[94:95], v[88:89], v[58:59]
	s_delay_alu instid0(VALU_DEP_3) | instskip(SKIP_1) | instid1(VALU_DEP_2)
	v_add_f64_e64 v[78:79], v[76:77], -v[74:75]
	v_add_f64_e32 v[92:93], v[64:65], v[76:77]
	v_add_f64_e64 v[90:91], v[76:77], -v[78:79]
	v_add_f64_e64 v[60:61], v[60:61], -v[78:79]
	s_delay_alu instid0(VALU_DEP_3) | instskip(NEXT) | instid1(VALU_DEP_3)
	v_ldexp_f64 v[78:79], v[92:93], -2
	v_add_f64_e64 v[74:75], v[74:75], -v[90:91]
	v_add_f64_e32 v[90:91], v[94:95], v[62:63]
	s_delay_alu instid0(VALU_DEP_3) | instskip(NEXT) | instid1(VALU_DEP_3)
	v_cmp_neq_f64_e64 s0, 0x7ff00000, |v[78:79]|
	v_add_f64_e32 v[60:61], v[60:61], v[74:75]
	v_fract_f64_e32 v[74:75], v[78:79]
	s_delay_alu instid0(VALU_DEP_1) | instskip(NEXT) | instid1(VALU_DEP_1)
	v_ldexp_f64 v[74:75], v[74:75], 2
	v_dual_add_f64 v[64:65], v[92:93], -v[64:65] :: v_dual_cndmask_b32 v75, 0, v75, s0
	s_delay_alu instid0(VALU_DEP_1) | instskip(SKIP_2) | instid1(VALU_DEP_2)
	v_dual_add_f64 v[64:65], v[76:77], -v[64:65] :: v_dual_cndmask_b32 v74, 0, v74, s0
	v_add_f64_e32 v[76:77], v[90:91], v[60:61]
	v_fma_f64 v[58:59], v[88:89], v[58:59], -v[94:95]
	v_add_f64_e32 v[78:79], v[64:65], v[76:77]
	v_add_f64_e64 v[96:97], v[76:77], -v[90:91]
	s_delay_alu instid0(VALU_DEP_2) | instskip(NEXT) | instid1(VALU_DEP_2)
	v_add_f64_e32 v[92:93], v[78:79], v[74:75]
	v_add_f64_e64 v[102:103], v[76:77], -v[96:97]
	v_add_f64_e64 v[60:61], v[60:61], -v[96:97]
	;; [unrolled: 1-line block ×3, first 2 shown]
	s_delay_alu instid0(VALU_DEP_4) | instskip(SKIP_1) | instid1(VALU_DEP_3)
	v_cmp_gt_f64_e64 s0, 0, v[92:93]
	v_add_f64_e64 v[92:93], v[90:91], -v[94:95]
	v_add_f64_e64 v[64:65], v[76:77], -v[64:65]
	s_delay_alu instid0(VALU_DEP_3) | instskip(NEXT) | instid1(VALU_DEP_3)
	v_cndmask_b32_e64 v39, 0, 0x40100000, s0
	v_add_f64_e64 v[100:101], v[90:91], -v[92:93]
	v_add_f64_e64 v[62:63], v[62:63], -v[92:93]
	;; [unrolled: 1-line block ×3, first 2 shown]
	s_delay_alu instid0(VALU_DEP_4) | instskip(NEXT) | instid1(VALU_DEP_4)
	v_add_f64_e32 v[74:75], v[74:75], v[38:39]
	v_add_f64_e64 v[92:93], v[94:95], -v[100:101]
	s_delay_alu instid0(VALU_DEP_3) | instskip(NEXT) | instid1(VALU_DEP_3)
	v_add_f64_e32 v[60:61], v[60:61], v[90:91]
	v_add_f64_e32 v[98:99], v[78:79], v[74:75]
	s_delay_alu instid0(VALU_DEP_3) | instskip(NEXT) | instid1(VALU_DEP_2)
	v_add_f64_e32 v[62:63], v[62:63], v[92:93]
	v_cvt_i32_f64_e32 v39, v[98:99]
	s_delay_alu instid0(VALU_DEP_2) | instskip(NEXT) | instid1(VALU_DEP_2)
	v_add_f64_e32 v[60:61], v[62:63], v[60:61]
	v_cvt_f64_i32_e32 v[96:97], v39
	s_delay_alu instid0(VALU_DEP_2) | instskip(NEXT) | instid1(VALU_DEP_2)
	v_add_f64_e32 v[58:59], v[58:59], v[60:61]
	v_add_f64_e64 v[74:75], v[74:75], -v[96:97]
	s_delay_alu instid0(VALU_DEP_2) | instskip(NEXT) | instid1(VALU_DEP_2)
	v_add_f64_e32 v[58:59], v[64:65], v[58:59]
	v_add_f64_e32 v[62:63], v[78:79], v[74:75]
	s_delay_alu instid0(VALU_DEP_1) | instskip(SKIP_1) | instid1(VALU_DEP_2)
	v_add_f64_e64 v[60:61], v[62:63], -v[74:75]
	v_cmp_le_f64_e64 s0, 0.5, v[62:63]
	v_add_f64_e64 v[60:61], v[78:79], -v[60:61]
	s_delay_alu instid0(VALU_DEP_2) | instskip(SKIP_1) | instid1(VALU_DEP_3)
	v_add_co_ci_u32_e64 v87, null, 0, v39, s0
	v_cndmask_b32_e64 v39, 0, 0x3ff00000, s0
	v_add_f64_e32 v[58:59], v[58:59], v[60:61]
	s_delay_alu instid0(VALU_DEP_2) | instskip(NEXT) | instid1(VALU_DEP_1)
	v_add_f64_e64 v[60:61], v[62:63], -v[38:39]
	v_add_f64_e32 v[62:63], v[60:61], v[58:59]
	s_delay_alu instid0(VALU_DEP_1) | instskip(SKIP_1) | instid1(VALU_DEP_2)
	v_mul_f64_e32 v[64:65], 0x3ff921fb54442d18, v[62:63]
	v_add_f64_e64 v[60:61], v[62:63], -v[60:61]
	v_fma_f64 v[74:75], v[62:63], s[28:29], -v[64:65]
	s_delay_alu instid0(VALU_DEP_2) | instskip(NEXT) | instid1(VALU_DEP_2)
	v_add_f64_e64 v[58:59], v[58:59], -v[60:61]
	v_fmac_f64_e32 v[74:75], 0x3c91a62633145c07, v[62:63]
	s_delay_alu instid0(VALU_DEP_1) | instskip(NEXT) | instid1(VALU_DEP_1)
	v_fmac_f64_e32 v[74:75], 0x3ff921fb54442d18, v[58:59]
	v_add_f64_e32 v[58:59], v[64:65], v[74:75]
	s_delay_alu instid0(VALU_DEP_1) | instskip(NEXT) | instid1(VALU_DEP_1)
	v_add_f64_e64 v[60:61], v[58:59], -v[64:65]
	v_add_f64_e64 v[60:61], v[74:75], -v[60:61]
.LBB0_93:                               ;   in Loop: Header=BB0_88 Depth=2
	s_or_saveexec_b32 s0, s2
	v_mul_f64_e64 v[62:63], |v[52:53]|, s[30:31]
	s_delay_alu instid0(VALU_DEP_1)
	v_rndne_f64_e32 v[74:75], v[62:63]
	s_xor_b32 exec_lo, exec_lo, s0
	s_cbranch_execz .LBB0_95
; %bb.94:                               ;   in Loop: Header=BB0_88 Depth=2
	s_delay_alu instid0(VALU_DEP_1) | instskip(SKIP_2) | instid1(VALU_DEP_3)
	v_fma_f64 v[58:59], v[74:75], s[34:35], |v[52:53]|
	v_mul_f64_e32 v[60:61], 0xbc91a62633145c00, v[74:75]
	v_cvt_i32_f64_e32 v87, v[74:75]
	v_fmamk_f64 v[76:77], v[74:75], 0xbc91a62633145c00, v[58:59]
	s_delay_alu instid0(VALU_DEP_3) | instskip(NEXT) | instid1(VALU_DEP_1)
	v_add_f64_e32 v[62:63], v[58:59], v[60:61]
	v_add_f64_e64 v[64:65], v[58:59], -v[62:63]
	s_delay_alu instid0(VALU_DEP_3) | instskip(NEXT) | instid1(VALU_DEP_2)
	v_add_f64_e64 v[58:59], v[62:63], -v[76:77]
	v_add_f64_e32 v[62:63], v[64:65], v[60:61]
	v_fmamk_f64 v[60:61], v[74:75], 0x3c91a62633145c00, v[60:61]
	s_delay_alu instid0(VALU_DEP_2) | instskip(NEXT) | instid1(VALU_DEP_1)
	v_add_f64_e32 v[58:59], v[58:59], v[62:63]
	v_add_f64_e64 v[60:61], v[58:59], -v[60:61]
	s_delay_alu instid0(VALU_DEP_1) | instskip(NEXT) | instid1(VALU_DEP_1)
	v_fmac_f64_e32 v[60:61], 0xb97b839a252049c0, v[74:75]
	v_add_f64_e32 v[58:59], v[76:77], v[60:61]
	s_delay_alu instid0(VALU_DEP_1) | instskip(NEXT) | instid1(VALU_DEP_1)
	v_add_f64_e64 v[62:63], v[58:59], -v[76:77]
	v_add_f64_e64 v[60:61], v[60:61], -v[62:63]
.LBB0_95:                               ;   in Loop: Header=BB0_88 Depth=2
	s_or_b32 exec_lo, exec_lo, s0
                                        ; implicit-def: $vgpr88
                                        ; implicit-def: $vgpr62_vgpr63
                                        ; implicit-def: $vgpr64_vgpr65
                                        ; implicit-def: $vgpr78_vgpr79
                                        ; implicit-def: $vgpr76_vgpr77
                                        ; implicit-def: $vgpr81
	s_and_saveexec_b32 s0, s1
	s_delay_alu instid0(SALU_CYCLE_1)
	s_xor_b32 s1, exec_lo, s0
	s_cbranch_execz .LBB0_97
; %bb.96:                               ;   in Loop: Header=BB0_88 Depth=2
	v_ldexp_f64 v[72:73], |v[52:53]|, 0xffffff80
	v_cmp_le_f64_e64 s0, 0x7b000000, |v[52:53]|
	v_trig_preop_f64 v[70:71], |v[52:53]|, 0
	v_trig_preop_f64 v[68:69], |v[52:53]|, 1
	;; [unrolled: 1-line block ×3, first 2 shown]
	v_cvt_i32_f64_e32 v81, v[74:75]
	v_cndmask_b32_e64 v63, v80, v73, s0
	v_cndmask_b32_e64 v62, v52, v72, s0
	s_delay_alu instid0(VALU_DEP_1) | instskip(SKIP_1) | instid1(VALU_DEP_2)
	v_mul_f64_e32 v[64:65], v[70:71], v[62:63]
	v_mul_f64_e32 v[76:77], v[68:69], v[62:63]
	v_fma_f64 v[78:79], v[70:71], v[62:63], -v[64:65]
	s_delay_alu instid0(VALU_DEP_1) | instskip(NEXT) | instid1(VALU_DEP_1)
	v_add_f64_e32 v[88:89], v[76:77], v[78:79]
	v_add_f64_e64 v[90:91], v[88:89], -v[76:77]
	v_add_f64_e32 v[94:95], v[64:65], v[88:89]
	s_delay_alu instid0(VALU_DEP_2) | instskip(SKIP_2) | instid1(VALU_DEP_4)
	v_add_f64_e64 v[92:93], v[88:89], -v[90:91]
	v_add_f64_e64 v[78:79], v[78:79], -v[90:91]
	v_fma_f64 v[98:99], v[68:69], v[62:63], -v[76:77]
	v_ldexp_f64 v[90:91], v[94:95], -2
	v_add_f64_e64 v[64:65], v[94:95], -v[64:65]
	v_add_f64_e64 v[76:77], v[76:77], -v[92:93]
	s_delay_alu instid0(VALU_DEP_3) | instskip(NEXT) | instid1(VALU_DEP_3)
	v_cmp_neq_f64_e64 s0, 0x7ff00000, |v[90:91]|
	v_add_f64_e64 v[64:65], v[88:89], -v[64:65]
	s_delay_alu instid0(VALU_DEP_3) | instskip(SKIP_1) | instid1(VALU_DEP_1)
	v_add_f64_e32 v[76:77], v[78:79], v[76:77]
	v_fract_f64_e32 v[78:79], v[90:91]
	v_ldexp_f64 v[78:79], v[78:79], 2
	s_delay_alu instid0(VALU_DEP_1) | instskip(SKIP_1) | instid1(VALU_DEP_3)
	v_cndmask_b32_e64 v79, 0, v79, s0
	v_mul_f64_e32 v[96:97], v[66:67], v[62:63]
	v_cndmask_b32_e64 v78, 0, v78, s0
	s_delay_alu instid0(VALU_DEP_2) | instskip(SKIP_1) | instid1(VALU_DEP_2)
	v_add_f64_e32 v[92:93], v[96:97], v[98:99]
	v_fma_f64 v[62:63], v[66:67], v[62:63], -v[96:97]
	v_add_f64_e32 v[88:89], v[92:93], v[76:77]
	s_delay_alu instid0(VALU_DEP_1) | instskip(SKIP_1) | instid1(VALU_DEP_2)
	v_add_f64_e32 v[90:91], v[64:65], v[88:89]
	v_add_f64_e64 v[100:101], v[88:89], -v[92:93]
	v_add_f64_e32 v[94:95], v[90:91], v[78:79]
	s_delay_alu instid0(VALU_DEP_2) | instskip(SKIP_2) | instid1(VALU_DEP_4)
	v_add_f64_e64 v[106:107], v[88:89], -v[100:101]
	v_add_f64_e64 v[76:77], v[76:77], -v[100:101]
	v_add_f64_e64 v[64:65], v[90:91], -v[64:65]
	v_cmp_gt_f64_e64 s0, 0, v[94:95]
	v_add_f64_e64 v[94:95], v[92:93], -v[96:97]
	s_delay_alu instid0(VALU_DEP_3) | instskip(NEXT) | instid1(VALU_DEP_3)
	v_add_f64_e64 v[64:65], v[88:89], -v[64:65]
	v_cndmask_b32_e64 v39, 0, 0x40100000, s0
	s_delay_alu instid0(VALU_DEP_3) | instskip(SKIP_2) | instid1(VALU_DEP_4)
	v_add_f64_e64 v[104:105], v[92:93], -v[94:95]
	v_add_f64_e64 v[94:95], v[98:99], -v[94:95]
	;; [unrolled: 1-line block ×3, first 2 shown]
	v_add_f64_e32 v[78:79], v[78:79], v[38:39]
	s_delay_alu instid0(VALU_DEP_4) | instskip(NEXT) | instid1(VALU_DEP_3)
	v_add_f64_e64 v[98:99], v[96:97], -v[104:105]
	v_add_f64_e32 v[76:77], v[76:77], v[92:93]
	s_delay_alu instid0(VALU_DEP_3) | instskip(NEXT) | instid1(VALU_DEP_3)
	v_add_f64_e32 v[102:103], v[90:91], v[78:79]
	v_add_f64_e32 v[94:95], v[94:95], v[98:99]
	s_delay_alu instid0(VALU_DEP_2) | instskip(NEXT) | instid1(VALU_DEP_2)
	v_cvt_i32_f64_e32 v39, v[102:103]
	v_add_f64_e32 v[76:77], v[94:95], v[76:77]
	v_mul_f64_e32 v[94:95], 0xbc91a62633145c00, v[74:75]
	s_delay_alu instid0(VALU_DEP_3) | instskip(NEXT) | instid1(VALU_DEP_3)
	v_cvt_f64_i32_e32 v[100:101], v39
	v_add_f64_e32 v[62:63], v[62:63], v[76:77]
	s_delay_alu instid0(VALU_DEP_2) | instskip(NEXT) | instid1(VALU_DEP_2)
	v_add_f64_e64 v[78:79], v[78:79], -v[100:101]
	v_add_f64_e32 v[62:63], v[64:65], v[62:63]
	s_delay_alu instid0(VALU_DEP_2) | instskip(NEXT) | instid1(VALU_DEP_1)
	v_add_f64_e32 v[92:93], v[90:91], v[78:79]
	v_add_f64_e64 v[76:77], v[92:93], -v[78:79]
	v_cmp_le_f64_e64 s0, 0.5, v[92:93]
	v_fma_f64 v[78:79], v[74:75], s[34:35], |v[52:53]|
	s_delay_alu instid0(VALU_DEP_3) | instskip(NEXT) | instid1(VALU_DEP_3)
	v_add_f64_e64 v[64:65], v[90:91], -v[76:77]
	v_add_co_ci_u32_e64 v88, null, 0, v39, s0
	v_cndmask_b32_e64 v39, 0, 0x3ff00000, s0
	s_delay_alu instid0(VALU_DEP_4) | instskip(SKIP_1) | instid1(VALU_DEP_3)
	v_add_f64_e32 v[76:77], v[78:79], v[94:95]
	v_fmamk_f64 v[96:97], v[74:75], 0xbc91a62633145c00, v[78:79]
	v_add_f64_e64 v[90:91], v[92:93], -v[38:39]
	v_add_f64_e32 v[62:63], v[62:63], v[64:65]
	s_delay_alu instid0(VALU_DEP_4) | instskip(NEXT) | instid1(VALU_DEP_4)
	v_add_f64_e64 v[64:65], v[78:79], -v[76:77]
	v_add_f64_e64 v[76:77], v[76:77], -v[96:97]
	v_fmamk_f64 v[78:79], v[74:75], 0x3c91a62633145c00, v[94:95]
	s_delay_alu instid0(VALU_DEP_4) | instskip(NEXT) | instid1(VALU_DEP_4)
	v_add_f64_e32 v[92:93], v[90:91], v[62:63]
	v_add_f64_e32 v[64:65], v[64:65], v[94:95]
	s_delay_alu instid0(VALU_DEP_2) | instskip(NEXT) | instid1(VALU_DEP_2)
	v_mul_f64_e32 v[98:99], 0x3ff921fb54442d18, v[92:93]
	v_add_f64_e32 v[64:65], v[76:77], v[64:65]
	v_add_f64_e64 v[76:77], v[92:93], -v[90:91]
	s_delay_alu instid0(VALU_DEP_3) | instskip(NEXT) | instid1(VALU_DEP_3)
	v_fma_f64 v[90:91], v[92:93], s[28:29], -v[98:99]
	v_add_f64_e64 v[64:65], v[64:65], -v[78:79]
	s_delay_alu instid0(VALU_DEP_3) | instskip(NEXT) | instid1(VALU_DEP_3)
	v_add_f64_e64 v[62:63], v[62:63], -v[76:77]
	v_fmac_f64_e32 v[90:91], 0x3c91a62633145c07, v[92:93]
	s_delay_alu instid0(VALU_DEP_3) | instskip(NEXT) | instid1(VALU_DEP_2)
	v_fmac_f64_e32 v[64:65], 0xb97b839a252049c0, v[74:75]
                                        ; implicit-def: $vgpr74_vgpr75
	v_fmac_f64_e32 v[90:91], 0x3ff921fb54442d18, v[62:63]
	s_delay_alu instid0(VALU_DEP_2) | instskip(NEXT) | instid1(VALU_DEP_2)
	v_add_f64_e32 v[78:79], v[96:97], v[64:65]
	v_add_f64_e32 v[62:63], v[98:99], v[90:91]
	s_delay_alu instid0(VALU_DEP_2) | instskip(NEXT) | instid1(VALU_DEP_2)
	v_add_f64_e64 v[76:77], v[78:79], -v[96:97]
	v_add_f64_e64 v[92:93], v[62:63], -v[98:99]
	s_delay_alu instid0(VALU_DEP_2) | instskip(NEXT) | instid1(VALU_DEP_2)
	v_add_f64_e64 v[76:77], v[64:65], -v[76:77]
	v_add_f64_e64 v[64:65], v[90:91], -v[92:93]
	s_and_not1_saveexec_b32 s0, s1
	s_cbranch_execnz .LBB0_98
	s_branch .LBB0_99
.LBB0_97:                               ;   in Loop: Header=BB0_88 Depth=2
	s_and_not1_saveexec_b32 s0, s1
	s_cbranch_execz .LBB0_99
.LBB0_98:                               ;   in Loop: Header=BB0_88 Depth=2
	s_delay_alu instid0(VALU_DEP_1) | instskip(SKIP_2) | instid1(VALU_DEP_1)
	v_fma_f64 v[62:63], v[74:75], s[34:35], |v[52:53]|
	v_mul_f64_e32 v[64:65], 0xbc91a62633145c00, v[74:75]
	v_cvt_i32_f64_e32 v81, v[74:75]
	v_dual_add_f64 v[76:77], v[62:63], v[64:65] :: v_dual_mov_b32 v88, v81
	s_delay_alu instid0(VALU_DEP_1) | instskip(SKIP_1) | instid1(VALU_DEP_1)
	v_add_f64_e64 v[78:79], v[62:63], -v[76:77]
	v_fmamk_f64 v[62:63], v[74:75], 0xbc91a62633145c00, v[62:63]
	v_add_f64_e64 v[76:77], v[76:77], -v[62:63]
	s_delay_alu instid0(VALU_DEP_3) | instskip(SKIP_1) | instid1(VALU_DEP_2)
	v_add_f64_e32 v[78:79], v[78:79], v[64:65]
	v_fmamk_f64 v[64:65], v[74:75], 0x3c91a62633145c00, v[64:65]
	v_add_f64_e32 v[76:77], v[76:77], v[78:79]
	s_delay_alu instid0(VALU_DEP_1) | instskip(NEXT) | instid1(VALU_DEP_1)
	v_add_f64_e64 v[64:65], v[76:77], -v[64:65]
	v_fmac_f64_e32 v[64:65], 0xb97b839a252049c0, v[74:75]
	s_delay_alu instid0(VALU_DEP_1) | instskip(NEXT) | instid1(VALU_DEP_1)
	v_add_f64_e32 v[78:79], v[62:63], v[64:65]
	v_add_f64_e64 v[62:63], v[78:79], -v[62:63]
	s_delay_alu instid0(VALU_DEP_1) | instskip(SKIP_1) | instid1(VALU_DEP_2)
	v_add_f64_e64 v[76:77], v[64:65], -v[62:63]
	v_mov_b64_e32 v[62:63], v[78:79]
	v_mov_b64_e32 v[64:65], v[76:77]
.LBB0_99:                               ;   in Loop: Header=BB0_88 Depth=2
	s_or_b32 exec_lo, exec_lo, s0
	v_cmp_le_f64_e64 s0, 0x7b000000, |v[52:53]|
	s_mov_b64 s[2:3], 0
	v_cndmask_b32_e64 v73, v80, v73, s0
	v_cndmask_b32_e64 v72, v52, v72, s0
	s_delay_alu instid0(VALU_DEP_1) | instskip(SKIP_1) | instid1(VALU_DEP_2)
	v_mul_f64_e32 v[74:75], v[72:73], v[70:71]
	v_mul_f64_e32 v[90:91], v[68:69], v[72:73]
	v_fma_f64 v[70:71], v[70:71], v[72:73], -v[74:75]
	s_delay_alu instid0(VALU_DEP_1) | instskip(NEXT) | instid1(VALU_DEP_1)
	v_add_f64_e32 v[92:93], v[90:91], v[70:71]
	v_add_f64_e64 v[94:95], v[92:93], -v[90:91]
	v_add_f64_e32 v[98:99], v[74:75], v[92:93]
	s_delay_alu instid0(VALU_DEP_2) | instskip(SKIP_2) | instid1(VALU_DEP_4)
	v_add_f64_e64 v[96:97], v[92:93], -v[94:95]
	v_add_f64_e64 v[70:71], v[70:71], -v[94:95]
	v_fma_f64 v[68:69], v[68:69], v[72:73], -v[90:91]
	v_ldexp_f64 v[94:95], v[98:99], -2
	v_mul_f64_e32 v[100:101], v[66:67], v[72:73]
	v_add_f64_e64 v[90:91], v[90:91], -v[96:97]
	s_delay_alu instid0(VALU_DEP_3) | instskip(NEXT) | instid1(VALU_DEP_3)
	v_cmp_neq_f64_e64 s0, 0x7ff00000, |v[94:95]|
	v_add_f64_e32 v[96:97], v[100:101], v[68:69]
	v_fma_f64 v[66:67], v[66:67], v[72:73], -v[100:101]
	s_delay_alu instid0(VALU_DEP_4) | instskip(SKIP_1) | instid1(VALU_DEP_1)
	v_add_f64_e32 v[70:71], v[70:71], v[90:91]
	v_fract_f64_e32 v[90:91], v[94:95]
	v_ldexp_f64 v[90:91], v[90:91], 2
	s_delay_alu instid0(VALU_DEP_1) | instskip(SKIP_1) | instid1(VALU_DEP_3)
	v_cndmask_b32_e64 v90, 0, v90, s0
	v_add_f64_e64 v[74:75], v[98:99], -v[74:75]
	v_cndmask_b32_e64 v91, 0, v91, s0
	s_delay_alu instid0(VALU_DEP_2) | instskip(SKIP_1) | instid1(VALU_DEP_1)
	v_add_f64_e64 v[74:75], v[92:93], -v[74:75]
	v_add_f64_e32 v[92:93], v[96:97], v[70:71]
	v_add_f64_e32 v[94:95], v[74:75], v[92:93]
	v_add_f64_e64 v[102:103], v[92:93], -v[96:97]
	s_delay_alu instid0(VALU_DEP_2) | instskip(NEXT) | instid1(VALU_DEP_2)
	v_add_f64_e32 v[98:99], v[94:95], v[90:91]
	v_add_f64_e64 v[108:109], v[92:93], -v[102:103]
	v_add_f64_e64 v[70:71], v[70:71], -v[102:103]
	;; [unrolled: 1-line block ×3, first 2 shown]
	s_delay_alu instid0(VALU_DEP_4) | instskip(SKIP_1) | instid1(VALU_DEP_3)
	v_cmp_gt_f64_e64 s0, 0, v[98:99]
	v_add_f64_e64 v[98:99], v[96:97], -v[100:101]
	v_add_f64_e64 v[72:73], v[92:93], -v[72:73]
	s_delay_alu instid0(VALU_DEP_3) | instskip(NEXT) | instid1(VALU_DEP_3)
	v_cndmask_b32_e64 v39, 0, 0x40100000, s0
	v_add_f64_e64 v[106:107], v[96:97], -v[98:99]
	v_add_f64_e64 v[68:69], v[68:69], -v[98:99]
	;; [unrolled: 1-line block ×3, first 2 shown]
	s_delay_alu instid0(VALU_DEP_4) | instskip(NEXT) | instid1(VALU_DEP_4)
	v_add_f64_e32 v[90:91], v[90:91], v[38:39]
	v_add_f64_e64 v[98:99], v[100:101], -v[106:107]
	s_delay_alu instid0(VALU_DEP_3) | instskip(NEXT) | instid1(VALU_DEP_3)
	v_add_f64_e32 v[70:71], v[70:71], v[96:97]
	v_add_f64_e32 v[104:105], v[94:95], v[90:91]
	s_delay_alu instid0(VALU_DEP_3) | instskip(NEXT) | instid1(VALU_DEP_2)
	v_add_f64_e32 v[68:69], v[68:69], v[98:99]
	v_cvt_i32_f64_e32 v39, v[104:105]
	s_delay_alu instid0(VALU_DEP_2) | instskip(NEXT) | instid1(VALU_DEP_2)
	v_add_f64_e32 v[68:69], v[68:69], v[70:71]
	v_cvt_f64_i32_e32 v[102:103], v39
	s_delay_alu instid0(VALU_DEP_2) | instskip(NEXT) | instid1(VALU_DEP_2)
	v_add_f64_e32 v[66:67], v[66:67], v[68:69]
	v_add_f64_e64 v[90:91], v[90:91], -v[102:103]
	s_delay_alu instid0(VALU_DEP_2) | instskip(NEXT) | instid1(VALU_DEP_2)
	v_add_f64_e32 v[66:67], v[72:73], v[66:67]
	v_add_f64_e32 v[70:71], v[94:95], v[90:91]
	s_delay_alu instid0(VALU_DEP_1) | instskip(SKIP_1) | instid1(VALU_DEP_2)
	v_add_f64_e64 v[68:69], v[70:71], -v[90:91]
	v_cmp_le_f64_e64 s0, 0.5, v[70:71]
	v_add_f64_e64 v[68:69], v[94:95], -v[68:69]
	s_delay_alu instid0(VALU_DEP_2) | instskip(SKIP_2) | instid1(VALU_DEP_2)
	v_add_co_ci_u32_e64 v80, null, 0, v39, s0
	v_cndmask_b32_e64 v39, 0, 0x3ff00000, s0
	v_cmp_class_f64_e64 s0, v[52:53], 0x1f8
	v_dual_add_f64 v[70:71], v[70:71], -v[38:39] :: v_dual_cndmask_b32 v39, v80, v81, vcc_lo
	v_add_f64_e32 v[68:69], v[66:67], v[68:69]
	v_mul_f64_e32 v[66:67], 0x40280000, v[48:49]
	s_delay_alu instid0(VALU_DEP_2) | instskip(NEXT) | instid1(VALU_DEP_2)
	v_add_f64_e32 v[72:73], v[70:71], v[68:69]
	v_fma_f64 v[90:91], v[46:47], 0, -v[66:67]
	s_delay_alu instid0(VALU_DEP_2) | instskip(SKIP_1) | instid1(VALU_DEP_3)
	v_mul_f64_e32 v[74:75], 0x3ff921fb54442d18, v[72:73]
	v_add_f64_e64 v[70:71], v[72:73], -v[70:71]
	v_fma_f64 v[90:91], 0x3f300000, v[90:91], 1.0
	s_delay_alu instid0(VALU_DEP_3) | instskip(NEXT) | instid1(VALU_DEP_3)
	v_fma_f64 v[92:93], v[72:73], s[28:29], -v[74:75]
	v_add_f64_e64 v[68:69], v[68:69], -v[70:71]
	s_delay_alu instid0(VALU_DEP_3) | instskip(NEXT) | instid1(VALU_DEP_3)
	v_mul_f64_e32 v[70:71], v[90:91], v[90:91]
	v_fmac_f64_e32 v[92:93], 0x3c91a62633145c07, v[72:73]
	s_delay_alu instid0(VALU_DEP_1) | instskip(NEXT) | instid1(VALU_DEP_3)
	v_fmac_f64_e32 v[92:93], 0x3ff921fb54442d18, v[68:69]
	v_mul_f64_e32 v[68:69], v[70:71], v[70:71]
	s_delay_alu instid0(VALU_DEP_2) | instskip(NEXT) | instid1(VALU_DEP_1)
	v_add_f64_e32 v[70:71], v[74:75], v[92:93]
	v_dual_mul_f64 v[68:69], v[68:69], v[68:69] :: v_dual_cndmask_b32 v73, v71, v79, vcc_lo
	s_delay_alu instid0(VALU_DEP_1) | instskip(SKIP_1) | instid1(VALU_DEP_2)
	v_dual_mul_f64 v[68:69], v[68:69], v[68:69] :: v_dual_cndmask_b32 v72, v70, v78, vcc_lo
	v_add_f64_e64 v[70:71], v[70:71], -v[74:75]
	v_mul_f64_e32 v[78:79], v[72:73], v[72:73]
	s_delay_alu instid0(VALU_DEP_3) | instskip(NEXT) | instid1(VALU_DEP_3)
	v_mul_f64_e32 v[68:69], v[68:69], v[68:69]
	v_add_f64_e64 v[70:71], v[92:93], -v[70:71]
	s_delay_alu instid0(VALU_DEP_3) | instskip(SKIP_1) | instid1(VALU_DEP_1)
	v_mul_f64_e32 v[74:75], 0.5, v[78:79]
	v_fmamk_f64 v[96:97], v[78:79], 0x3de5e0b2f9a43bb8, v[34:35]
	v_fmaak_f64 v[96:97], v[78:79], v[96:97], 0x3ec71de3796cde01
	s_delay_alu instid0(VALU_DEP_1) | instskip(NEXT) | instid1(VALU_DEP_1)
	v_fmaak_f64 v[96:97], v[78:79], v[96:97], 0xbf2a01a019e83e5c
	v_fmaak_f64 v[96:97], v[78:79], v[96:97], 0x3f81111111110bb3
	v_mul_f64_e32 v[68:69], v[68:69], v[68:69]
	v_dual_cndmask_b32 v71, v71, v77 :: v_dual_cndmask_b32 v70, v70, v76
	v_mul_f64_e64 v[76:77], v[72:73], -v[78:79]
	v_add_f64_e64 v[90:91], -v[74:75], 1.0
	s_delay_alu instid0(VALU_DEP_3) | instskip(SKIP_1) | instid1(VALU_DEP_3)
	v_mul_f64_e32 v[92:93], 0.5, v[70:71]
	v_mul_f64_e32 v[68:69], v[68:69], v[68:69]
	v_add_f64_e64 v[94:95], -v[90:91], 1.0
	s_delay_alu instid0(VALU_DEP_3) | instskip(SKIP_1) | instid1(VALU_DEP_4)
	v_fmac_f64_e32 v[92:93], v[76:77], v[96:97]
	v_mul_f64_e32 v[96:97], v[78:79], v[78:79]
	v_mul_f64_e32 v[68:69], v[68:69], v[68:69]
	s_delay_alu instid0(VALU_DEP_4) | instskip(SKIP_2) | instid1(VALU_DEP_4)
	v_add_f64_e64 v[74:75], v[94:95], -v[74:75]
	v_fmamk_f64 v[94:95], v[78:79], 0xbda907db46cc5e42, v[32:33]
	v_fma_f64 v[92:93], v[78:79], v[92:93], -v[70:71]
	v_mul_f64_e32 v[68:69], v[68:69], v[68:69]
	s_delay_alu instid0(VALU_DEP_4) | instskip(NEXT) | instid1(VALU_DEP_4)
	v_fma_f64 v[70:71], v[72:73], -v[70:71], v[74:75]
	v_fmaak_f64 v[74:75], v[78:79], v[94:95], 0xbe927e4fa17f65f6
	s_delay_alu instid0(VALU_DEP_4) | instskip(NEXT) | instid1(VALU_DEP_2)
	v_fmac_f64_e32 v[92:93], 0xbfc5555555555555, v[76:77]
	v_fmaak_f64 v[74:75], v[78:79], v[74:75], 0x3efa01a019f4ec90
	s_delay_alu instid0(VALU_DEP_1) | instskip(NEXT) | instid1(VALU_DEP_1)
	v_fmaak_f64 v[74:75], v[78:79], v[74:75], 0xbf56c16c16c16967
	v_fmaak_f64 v[74:75], v[78:79], v[74:75], 0x3fa5555555555555
	v_mul_f64_e32 v[78:79], 0x40620000, v[54:55]
	v_mul_f64_e32 v[54:55], 0, v[54:55]
	;; [unrolled: 1-line block ×3, first 2 shown]
	s_delay_alu instid0(VALU_DEP_4) | instskip(SKIP_2) | instid1(VALU_DEP_4)
	v_fmac_f64_e32 v[70:71], v[96:97], v[74:75]
	v_add_f64_e64 v[72:73], v[72:73], -v[92:93]
	v_fmac_f64_e32 v[78:79], 0, v[56:57]
	v_mul_f64_e32 v[68:69], v[68:69], v[68:69]
	s_delay_alu instid0(VALU_DEP_4) | instskip(SKIP_1) | instid1(VALU_DEP_1)
	v_add_f64_e32 v[74:75], v[90:91], v[70:71]
	v_dual_lshlrev_b32 v39, 30, v39 :: v_dual_bitop2_b32 v70, 1, v39 bitop3:0x40
	v_cmp_eq_u32_e32 vcc_lo, 0, v70
	s_delay_alu instid0(VALU_DEP_2) | instskip(SKIP_3) | instid1(VALU_DEP_2)
	v_xor_b32_e32 v52, v39, v53
	v_mul_f64_e32 v[68:69], v[68:69], v[68:69]
	v_dual_cndmask_b32 v71, v75, v73 :: v_dual_cndmask_b32 v70, v72, v74
	v_cndmask_b32_e32 v74, v74, v72, vcc_lo
	v_bitop3_b32 v52, v71, v52, 0x80000000 bitop3:0x78
	s_delay_alu instid0(VALU_DEP_3) | instskip(NEXT) | instid1(VALU_DEP_3)
	v_cndmask_b32_e64 v72, 0, v70, s0
	v_cndmask_b32_e64 v76, 0, v74, s0
	s_delay_alu instid0(VALU_DEP_3) | instskip(SKIP_1) | instid1(VALU_DEP_1)
	v_cndmask_b32_e64 v77, 0x7ff80000, v52, s0
	v_xor_b32_e32 v52, 0x80000000, v73
	v_cndmask_b32_e32 v52, v52, v75, vcc_lo
	v_fma_f64 v[74:75], 0x40620000, v[56:57], -v[54:55]
	v_mov_b64_e32 v[54:55], 0
	v_mov_b64_e32 v[56:57], 0
	s_delay_alu instid0(VALU_DEP_4) | instskip(SKIP_2) | instid1(VALU_DEP_3)
	v_bitop3_b32 v39, v52, v39, 0x80000000 bitop3:0x78
	v_mul_f64_e32 v[70:71], v[68:69], v[76:77]
	v_mul_f64_e32 v[76:77], 0, v[76:77]
	v_cndmask_b32_e64 v73, 0x7ff80000, v39, s0
	s_delay_alu instid0(VALU_DEP_1) | instskip(NEXT) | instid1(VALU_DEP_3)
	v_fmac_f64_e32 v[70:71], 0, v[72:73]
	v_fma_f64 v[72:73], v[68:69], v[72:73], -v[76:77]
	v_add_f64_e64 v[76:77], -v[78:79], 0
	s_delay_alu instid0(VALU_DEP_3) | instskip(NEXT) | instid1(VALU_DEP_3)
	v_mul_f64_e32 v[78:79], 0, v[70:71]
	v_mul_f64_e32 v[80:81], 0, v[72:73]
.LBB0_100:                              ;   Parent Loop BB0_34 Depth=1
                                        ;     Parent Loop BB0_88 Depth=2
                                        ; =>    This Inner Loop Header: Depth=3
	s_get_pc_i64 s[40:41]
	s_add_nc_u64 s[40:41], s[40:41], __const._Z14fast_nuclear_W9RSComplex.neg_1n@rel64+4
	s_get_pc_i64 s[42:43]
	s_add_nc_u64 s[42:43], s[42:43], __const._Z14fast_nuclear_W9RSComplex.denominator_left@rel64+4
	s_add_nc_u64 s[40:41], s[40:41], s[2:3]
	s_add_nc_u64 s[42:43], s[42:43], s[2:3]
	s_load_b64 s[40:41], s[40:41], 0x0
	s_delay_alu instid0(VALU_DEP_3) | instskip(SKIP_2) | instid1(VALU_DEP_3)
	v_mul_f64_e32 v[94:95], v[76:77], v[76:77]
	s_load_b64 s[42:43], s[42:43], 0x0
	s_wait_kmcnt 0x0
	v_fma_f64 v[90:91], v[72:73], s[40:41], -v[78:79]
	s_delay_alu instid0(VALU_DEP_3) | instskip(SKIP_3) | instid1(SALU_CYCLE_1)
	v_fma_f64 v[96:97], s[40:41], v[70:71], v[80:81]
	v_add_f64_e64 v[92:93], s[42:43], -v[74:75]
	s_get_pc_i64 s[40:41]
	s_add_nc_u64 s[40:41], s[40:41], __const._Z14fast_nuclear_W9RSComplex.an@rel64+4
	s_add_nc_u64 s[40:41], s[40:41], s[2:3]
	s_add_nc_u64 s[2:3], s[2:3], 8
	s_load_b64 s[40:41], s[40:41], 0x0
	s_cmp_eq_u32 s2, 0x50
	s_delay_alu instid0(VALU_DEP_3) | instskip(NEXT) | instid1(VALU_DEP_2)
	v_add_f64_e32 v[90:91], -1.0, v[90:91]
	v_fma_f64 v[94:95], v[92:93], v[92:93], v[94:95]
	s_delay_alu instid0(VALU_DEP_2) | instskip(SKIP_1) | instid1(VALU_DEP_2)
	v_mul_f64_e32 v[98:99], v[92:93], v[90:91]
	v_mul_f64_e32 v[90:91], v[76:77], v[90:91]
	v_fmac_f64_e32 v[98:99], v[76:77], v[96:97]
	s_delay_alu instid0(VALU_DEP_2) | instskip(NEXT) | instid1(VALU_DEP_2)
	v_fma_f64 v[90:91], v[92:93], v[96:97], -v[90:91]
	v_div_scale_f64 v[92:93], null, v[94:95], v[94:95], v[98:99]
	s_delay_alu instid0(VALU_DEP_2) | instskip(SKIP_2) | instid1(VALU_DEP_4)
	v_div_scale_f64 v[96:97], null, v[94:95], v[94:95], v[90:91]
	v_div_scale_f64 v[108:109], vcc_lo, v[98:99], v[94:95], v[98:99]
	v_div_scale_f64 v[110:111], s1, v[90:91], v[94:95], v[90:91]
	v_rcp_f64_e32 v[100:101], v[92:93]
	s_delay_alu instid0(VALU_DEP_3) | instskip(NEXT) | instid1(TRANS32_DEP_2)
	v_rcp_f64_e32 v[102:103], v[96:97]
	v_fma_f64 v[104:105], -v[92:93], v[100:101], 1.0
	s_delay_alu instid0(TRANS32_DEP_1) | instskip(NEXT) | instid1(VALU_DEP_2)
	v_fma_f64 v[106:107], -v[96:97], v[102:103], 1.0
	v_fmac_f64_e32 v[100:101], v[100:101], v[104:105]
	s_delay_alu instid0(VALU_DEP_2) | instskip(NEXT) | instid1(VALU_DEP_2)
	v_fmac_f64_e32 v[102:103], v[102:103], v[106:107]
	v_fma_f64 v[104:105], -v[92:93], v[100:101], 1.0
	s_delay_alu instid0(VALU_DEP_2) | instskip(NEXT) | instid1(VALU_DEP_2)
	v_fma_f64 v[106:107], -v[96:97], v[102:103], 1.0
	v_fmac_f64_e32 v[100:101], v[100:101], v[104:105]
	s_delay_alu instid0(VALU_DEP_2) | instskip(NEXT) | instid1(VALU_DEP_2)
	v_fmac_f64_e32 v[102:103], v[102:103], v[106:107]
	v_mul_f64_e32 v[104:105], v[108:109], v[100:101]
	s_delay_alu instid0(VALU_DEP_2) | instskip(NEXT) | instid1(VALU_DEP_2)
	v_mul_f64_e32 v[106:107], v[110:111], v[102:103]
	v_fma_f64 v[92:93], -v[92:93], v[104:105], v[108:109]
	s_delay_alu instid0(VALU_DEP_2) | instskip(NEXT) | instid1(VALU_DEP_2)
	v_fma_f64 v[96:97], -v[96:97], v[106:107], v[110:111]
	v_div_fmas_f64 v[92:93], v[92:93], v[100:101], v[104:105]
	s_mov_b32 vcc_lo, s1
	s_delay_alu instid0(VALU_DEP_2) | instskip(NEXT) | instid1(VALU_DEP_2)
	v_div_fmas_f64 v[96:97], v[96:97], v[102:103], v[106:107]
	v_div_fixup_f64 v[92:93], v[92:93], v[94:95], v[98:99]
	s_delay_alu instid0(VALU_DEP_2) | instskip(NEXT) | instid1(VALU_DEP_1)
	v_div_fixup_f64 v[90:91], v[96:97], v[94:95], v[90:91]
	v_mul_f64_e32 v[94:95], 0, v[90:91]
	s_wait_kmcnt 0x0
	v_mul_f64_e32 v[90:91], s[40:41], v[90:91]
	s_delay_alu instid0(VALU_DEP_2) | instskip(NEXT) | instid1(VALU_DEP_2)
	v_fma_f64 v[94:95], s[40:41], v[92:93], -v[94:95]
	v_fmac_f64_e32 v[90:91], 0, v[92:93]
	s_delay_alu instid0(VALU_DEP_2) | instskip(NEXT) | instid1(VALU_DEP_2)
	v_add_f64_e32 v[54:55], v[54:55], v[94:95]
	v_add_f64_e32 v[56:57], v[56:57], v[90:91]
	s_cbranch_scc0 .LBB0_100
; %bb.101:                              ;   in Loop: Header=BB0_88 Depth=2
	v_dual_mul_f64 v[70:71], v[58:59], v[58:59] :: v_dual_bitop2_b32 v52, 1, v88 bitop3:0x40
	v_mul_f64_e32 v[72:73], v[62:63], v[62:63]
	v_dual_mul_f64 v[90:91], 0.5, v[60:61] :: v_dual_bitop2_b32 v39, 1, v87 bitop3:0x40
	s_delay_alu instid0(VALU_DEP_3) | instskip(SKIP_1) | instid1(VALU_DEP_3)
	v_cmp_eq_u32_e64 s1, 0, v52
	v_mul_f64_e32 v[94:95], 0.5, v[64:65]
	v_cmp_eq_u32_e32 vcc_lo, 0, v39
	v_lshlrev_b32_e32 v39, 30, v87
	v_mul_f64_e32 v[74:75], 0.5, v[70:71]
	v_mul_f64_e64 v[92:93], v[58:59], -v[70:71]
	v_mul_f64_e32 v[76:77], 0.5, v[72:73]
	v_fmamk_f64 v[96:97], v[70:71], 0x3de5e0b2f9a43bb8, v[34:35]
	v_mul_f64_e64 v[100:101], v[62:63], -v[72:73]
	v_fmamk_f64 v[104:105], v[72:73], 0x3de5e0b2f9a43bb8, v[34:35]
	s_delay_alu instid0(VALU_DEP_3) | instskip(NEXT) | instid1(VALU_DEP_2)
	v_fmaak_f64 v[96:97], v[70:71], v[96:97], 0x3ec71de3796cde01
	v_fmaak_f64 v[104:105], v[72:73], v[104:105], 0x3ec71de3796cde01
	s_delay_alu instid0(VALU_DEP_2) | instskip(NEXT) | instid1(VALU_DEP_2)
	v_fmaak_f64 v[96:97], v[70:71], v[96:97], 0xbf2a01a019e83e5c
	v_fmaak_f64 v[104:105], v[72:73], v[104:105], 0xbf2a01a019e83e5c
	s_delay_alu instid0(VALU_DEP_2) | instskip(NEXT) | instid1(VALU_DEP_2)
	v_fmaak_f64 v[96:97], v[70:71], v[96:97], 0x3f81111111110bb3
	v_fmaak_f64 v[104:105], v[72:73], v[104:105], 0x3f81111111110bb3
	v_add_f64_e64 v[78:79], -v[74:75], 1.0
	s_delay_alu instid0(VALU_DEP_3)
	v_fmac_f64_e32 v[90:91], v[92:93], v[96:97]
	v_add_f64_e64 v[80:81], -v[76:77], 1.0
	v_mul_f64_e32 v[96:97], v[70:71], v[70:71]
	v_fmac_f64_e32 v[94:95], v[100:101], v[104:105]
	v_add_f64_e64 v[98:99], -v[78:79], 1.0
	v_fma_f64 v[90:91], v[70:71], v[90:91], -v[60:61]
	v_add_f64_e64 v[102:103], -v[80:81], 1.0
	s_delay_alu instid0(VALU_DEP_3) | instskip(NEXT) | instid1(VALU_DEP_3)
	v_add_f64_e64 v[74:75], v[98:99], -v[74:75]
	v_fmac_f64_e32 v[90:91], 0xbfc5555555555555, v[92:93]
	s_delay_alu instid0(VALU_DEP_3) | instskip(SKIP_1) | instid1(VALU_DEP_4)
	v_add_f64_e64 v[76:77], v[102:103], -v[76:77]
	v_fmamk_f64 v[98:99], v[70:71], 0xbda907db46cc5e42, v[32:33]
	v_fma_f64 v[60:61], v[58:59], -v[60:61], v[74:75]
	s_delay_alu instid0(VALU_DEP_4) | instskip(SKIP_3) | instid1(VALU_DEP_1)
	v_add_f64_e64 v[58:59], v[58:59], -v[90:91]
	v_fma_f64 v[74:75], v[72:73], v[94:95], -v[64:65]
	v_fma_f64 v[64:65], v[62:63], -v[64:65], v[76:77]
	v_fmaak_f64 v[76:77], v[70:71], v[98:99], 0xbe927e4fa17f65f6
	v_fmaak_f64 v[76:77], v[70:71], v[76:77], 0x3efa01a019f4ec90
	s_delay_alu instid0(VALU_DEP_1) | instskip(NEXT) | instid1(VALU_DEP_1)
	v_fmaak_f64 v[76:77], v[70:71], v[76:77], 0xbf56c16c16c16967
	v_fmaak_f64 v[70:71], v[70:71], v[76:77], 0x3fa5555555555555
	s_delay_alu instid0(VALU_DEP_1) | instskip(SKIP_4) | instid1(VALU_DEP_4)
	v_fmac_f64_e32 v[60:61], v[96:97], v[70:71]
	v_lshlrev_b32_e32 v70, 30, v88
	v_fmamk_f64 v[102:103], v[72:73], 0xbda907db46cc5e42, v[32:33]
	v_mul_f64_e32 v[104:105], v[72:73], v[72:73]
	v_xor_b32_e32 v59, 0x80000000, v59
	v_xor_b32_e32 v52, v70, v53
	s_delay_alu instid0(VALU_DEP_4) | instskip(NEXT) | instid1(VALU_DEP_1)
	v_fmaak_f64 v[94:95], v[72:73], v[102:103], 0xbe927e4fa17f65f6
	v_fmaak_f64 v[94:95], v[72:73], v[94:95], 0x3efa01a019f4ec90
	s_delay_alu instid0(VALU_DEP_1) | instskip(NEXT) | instid1(VALU_DEP_1)
	v_fmaak_f64 v[94:95], v[72:73], v[94:95], 0xbf56c16c16c16967
	v_fmaak_f64 v[72:73], v[72:73], v[94:95], 0x3fa5555555555555
	v_add_f64_e32 v[60:61], v[78:79], v[60:61]
	s_delay_alu instid0(VALU_DEP_2) | instskip(NEXT) | instid1(VALU_DEP_2)
	v_fmac_f64_e32 v[64:65], v[104:105], v[72:73]
	v_cndmask_b32_e32 v53, v58, v60, vcc_lo
	v_fmac_f64_e32 v[74:75], 0xbfc5555555555555, v[100:101]
	s_delay_alu instid0(VALU_DEP_4) | instskip(NEXT) | instid1(VALU_DEP_4)
	v_cndmask_b32_e32 v58, v59, v61, vcc_lo
	v_add_f64_e32 v[64:65], v[80:81], v[64:65]
	s_delay_alu instid0(VALU_DEP_2) | instskip(NEXT) | instid1(VALU_DEP_4)
	v_bitop3_b32 v39, v58, v39, 0x80000000 bitop3:0x78
	v_add_f64_e64 v[62:63], v[62:63], -v[74:75]
	s_delay_alu instid0(VALU_DEP_1) | instskip(NEXT) | instid1(VALU_DEP_1)
	v_dual_cndmask_b32 v60, v65, v63, s1 :: v_dual_cndmask_b32 v59, v64, v62, s1
	v_bitop3_b32 v60, v60, v52, 0x80000000 bitop3:0x78
	s_delay_alu instid0(VALU_DEP_2) | instskip(SKIP_1) | instid1(VALU_DEP_3)
	v_dual_cndmask_b32 v52, 0, v53, s0 :: v_dual_cndmask_b32 v58, 0, v59, s0
	v_cndmask_b32_e64 v53, 0x7ff80000, v39, s0
	v_cndmask_b32_e64 v59, 0x7ff80000, v60, s0
	s_delay_alu instid0(VALU_DEP_2) | instskip(NEXT) | instid1(VALU_DEP_2)
	v_mul_f64_e32 v[60:61], v[68:69], v[52:53]
	v_mul_f64_e32 v[62:63], v[68:69], v[58:59]
	s_delay_alu instid0(VALU_DEP_2) | instskip(NEXT) | instid1(VALU_DEP_2)
	v_fma_f64 v[58:59], v[58:59], 0, -v[60:61]
	v_fmac_f64_e32 v[62:63], 0, v[52:53]
	v_mul_f64_e32 v[52:53], 0, v[46:47]
	s_delay_alu instid0(VALU_DEP_3) | instskip(NEXT) | instid1(VALU_DEP_3)
	v_add_f64_e32 v[58:59], 1.0, v[58:59]
	v_add_f64_e64 v[60:61], -v[62:63], 0
	v_mul_f64_e32 v[62:63], 0x40280000, v[46:47]
	s_delay_alu instid0(VALU_DEP_4) | instskip(NEXT) | instid1(VALU_DEP_3)
	v_add_f64_e32 v[52:53], v[52:53], v[66:67]
	v_fma_f64 v[64:65], 0, v[60:61], v[58:59]
	v_fma_f64 v[58:59], v[58:59], 0, -v[60:61]
	s_delay_alu instid0(VALU_DEP_4) | instskip(NEXT) | instid1(VALU_DEP_4)
	v_add_f64_e64 v[50:51], v[62:63], -v[50:51]
	v_mul_f64_e32 v[60:61], v[52:53], v[52:53]
	s_delay_alu instid0(VALU_DEP_4) | instskip(NEXT) | instid1(VALU_DEP_4)
	v_mul_f64_e32 v[62:63], v[52:53], v[64:65]
	v_mul_f64_e32 v[52:53], v[52:53], v[58:59]
	s_delay_alu instid0(VALU_DEP_3) | instskip(NEXT) | instid1(VALU_DEP_3)
	v_fmac_f64_e32 v[60:61], v[50:51], v[50:51]
	v_fmac_f64_e32 v[62:63], v[50:51], v[58:59]
	s_delay_alu instid0(VALU_DEP_3) | instskip(NEXT) | instid1(VALU_DEP_2)
	v_fma_f64 v[50:51], v[50:51], v[64:65], -v[52:53]
	v_div_scale_f64 v[52:53], null, v[60:61], v[60:61], v[62:63]
	s_delay_alu instid0(VALU_DEP_2) | instskip(SKIP_1) | instid1(VALU_DEP_3)
	v_div_scale_f64 v[58:59], null, v[60:61], v[60:61], v[50:51]
	v_div_scale_f64 v[72:73], vcc_lo, v[62:63], v[60:61], v[62:63]
	v_rcp_f64_e32 v[64:65], v[52:53]
	s_delay_alu instid0(VALU_DEP_2) | instskip(NEXT) | instid1(TRANS32_DEP_2)
	v_rcp_f64_e32 v[66:67], v[58:59]
	v_fma_f64 v[68:69], -v[52:53], v[64:65], 1.0
	s_delay_alu instid0(TRANS32_DEP_1) | instskip(NEXT) | instid1(VALU_DEP_2)
	v_fma_f64 v[70:71], -v[58:59], v[66:67], 1.0
	v_fmac_f64_e32 v[64:65], v[64:65], v[68:69]
	s_delay_alu instid0(VALU_DEP_2) | instskip(NEXT) | instid1(VALU_DEP_2)
	v_fmac_f64_e32 v[66:67], v[66:67], v[70:71]
	v_fma_f64 v[68:69], -v[52:53], v[64:65], 1.0
	s_delay_alu instid0(VALU_DEP_2) | instskip(NEXT) | instid1(VALU_DEP_2)
	v_fma_f64 v[70:71], -v[58:59], v[66:67], 1.0
	v_fmac_f64_e32 v[64:65], v[64:65], v[68:69]
	v_div_scale_f64 v[68:69], s0, v[50:51], v[60:61], v[50:51]
	s_delay_alu instid0(VALU_DEP_3) | instskip(SKIP_3) | instid1(VALU_DEP_4)
	v_fmac_f64_e32 v[66:67], v[66:67], v[70:71]
	v_mul_f64_e32 v[70:71], v[48:49], v[54:55]
	v_mul_f64_e32 v[48:49], v[48:49], v[56:57]
	;; [unrolled: 1-line block ×4, first 2 shown]
	s_delay_alu instid0(VALU_DEP_4) | instskip(NEXT) | instid1(VALU_DEP_4)
	v_fmac_f64_e32 v[70:71], v[46:47], v[56:57]
	v_fma_f64 v[46:47], v[46:47], v[54:55], -v[48:49]
	s_delay_alu instid0(VALU_DEP_4) | instskip(NEXT) | instid1(VALU_DEP_4)
	v_fma_f64 v[52:53], -v[52:53], v[74:75], v[72:73]
	v_fma_f64 v[56:57], -v[58:59], v[76:77], v[68:69]
	s_delay_alu instid0(VALU_DEP_4) | instskip(NEXT) | instid1(VALU_DEP_3)
	v_mul_f64_e32 v[48:49], 0x40544f923a29c77a, v[70:71]
	v_div_fmas_f64 v[52:53], v[52:53], v[64:65], v[74:75]
	s_mov_b32 vcc_lo, s0
	s_delay_alu instid0(VALU_DEP_3) | instskip(SKIP_1) | instid1(VALU_DEP_4)
	v_div_fmas_f64 v[54:55], v[56:57], v[66:67], v[76:77]
	v_mul_f64_e32 v[56:57], 0, v[70:71]
	v_fma_f64 v[48:49], v[46:47], 0, -v[48:49]
	s_delay_alu instid0(VALU_DEP_4) | instskip(NEXT) | instid1(VALU_DEP_4)
	v_div_fixup_f64 v[52:53], v[52:53], v[60:61], v[62:63]
	v_div_fixup_f64 v[54:55], v[54:55], v[60:61], v[50:51]
	s_delay_alu instid0(VALU_DEP_4) | instskip(NEXT) | instid1(VALU_DEP_3)
	v_fmac_f64_e32 v[56:57], 0x40544f923a29c77a, v[46:47]
	v_add_f64_e32 v[50:51], v[52:53], v[48:49]
	s_delay_alu instid0(VALU_DEP_2)
	v_add_f64_e32 v[52:53], v[54:55], v[56:57]
	s_branch .LBB0_87
.LBB0_102:
	s_or_b32 exec_lo, exec_lo, s33
.LBB0_103:
	s_delay_alu instid0(SALU_CYCLE_1) | instskip(NEXT) | instid1(VALU_DEP_2)
	s_or_b32 exec_lo, exec_lo, s4
	v_max_num_f64_e32 v[0:1], v[30:31], v[30:31]
	s_delay_alu instid0(VALU_DEP_1) | instskip(NEXT) | instid1(VALU_DEP_1)
	v_max_num_f64_e32 v[0:1], 0xffefffffffffffff, v[0:1]
	v_cmp_gt_f64_e32 vcc_lo, v[28:29], v[0:1]
	v_dual_cndmask_b32 v1, v1, v29 :: v_dual_cndmask_b32 v0, v0, v28
	v_cndmask_b32_e64 v2, 1, 2, vcc_lo
	s_delay_alu instid0(VALU_DEP_2) | instskip(NEXT) | instid1(VALU_DEP_1)
	v_cmp_gt_f64_e64 s0, v[26:27], v[0:1]
	v_dual_cndmask_b32 v1, v1, v27, s0 :: v_dual_cndmask_b32 v0, v0, v26, s0
	s_delay_alu instid0(VALU_DEP_3) | instskip(NEXT) | instid1(VALU_DEP_2)
	v_cndmask_b32_e64 v2, v2, 3, s0
	v_cmp_ngt_f64_e32 vcc_lo, v[20:21], v[0:1]
	v_lshl_add_u64 v[0:1], v[16:17], 2, s[18:19]
	s_delay_alu instid0(VALU_DEP_3)
	v_cndmask_b32_e32 v2, 4, v2, vcc_lo
	global_store_b32 v[0:1], v2, off
.LBB0_104:
	s_sendmsg sendmsg(MSG_DEALLOC_VGPRS)
	s_endpgm
	.section	.rodata,"a",@progbits
	.p2align	6, 0x0
	.amdhsa_kernel _Z6lookupPKiPKdS0_PiS0_S2_PK6WindowPK4Poleiiiiii
		.amdhsa_group_segment_fixed_size 131072
		.amdhsa_private_segment_fixed_size 0
		.amdhsa_kernarg_size 344
		.amdhsa_user_sgpr_count 4
		.amdhsa_user_sgpr_dispatch_ptr 1
		.amdhsa_user_sgpr_queue_ptr 0
		.amdhsa_user_sgpr_kernarg_segment_ptr 1
		.amdhsa_user_sgpr_dispatch_id 0
		.amdhsa_user_sgpr_kernarg_preload_length 0
		.amdhsa_user_sgpr_kernarg_preload_offset 0
		.amdhsa_user_sgpr_private_segment_size 0
		.amdhsa_wavefront_size32 1
		.amdhsa_uses_dynamic_stack 0
		.amdhsa_enable_private_segment 0
		.amdhsa_system_sgpr_workgroup_id_x 1
		.amdhsa_system_sgpr_workgroup_id_y 0
		.amdhsa_system_sgpr_workgroup_id_z 0
		.amdhsa_system_sgpr_workgroup_info 0
		.amdhsa_system_vgpr_workitem_id 2
		.amdhsa_next_free_vgpr 112
		.amdhsa_next_free_sgpr 44
		.amdhsa_named_barrier_count 0
		.amdhsa_reserve_vcc 1
		.amdhsa_float_round_mode_32 0
		.amdhsa_float_round_mode_16_64 0
		.amdhsa_float_denorm_mode_32 3
		.amdhsa_float_denorm_mode_16_64 3
		.amdhsa_fp16_overflow 0
		.amdhsa_memory_ordered 1
		.amdhsa_forward_progress 1
		.amdhsa_inst_pref_size 127
		.amdhsa_round_robin_scheduling 0
		.amdhsa_exception_fp_ieee_invalid_op 0
		.amdhsa_exception_fp_denorm_src 0
		.amdhsa_exception_fp_ieee_div_zero 0
		.amdhsa_exception_fp_ieee_overflow 0
		.amdhsa_exception_fp_ieee_underflow 0
		.amdhsa_exception_fp_ieee_inexact 0
		.amdhsa_exception_int_div_zero 0
	.end_amdhsa_kernel
	.text
.Lfunc_end0:
	.size	_Z6lookupPKiPKdS0_PiS0_S2_PK6WindowPK4Poleiiiiii, .Lfunc_end0-_Z6lookupPKiPKdS0_PiS0_S2_PK6WindowPK4Poleiiiiii
                                        ; -- End function
	.set _Z6lookupPKiPKdS0_PiS0_S2_PK6WindowPK4Poleiiiiii.num_vgpr, 112
	.set _Z6lookupPKiPKdS0_PiS0_S2_PK6WindowPK4Poleiiiiii.num_agpr, 0
	.set _Z6lookupPKiPKdS0_PiS0_S2_PK6WindowPK4Poleiiiiii.numbered_sgpr, 44
	.set _Z6lookupPKiPKdS0_PiS0_S2_PK6WindowPK4Poleiiiiii.num_named_barrier, 0
	.set _Z6lookupPKiPKdS0_PiS0_S2_PK6WindowPK4Poleiiiiii.private_seg_size, 0
	.set _Z6lookupPKiPKdS0_PiS0_S2_PK6WindowPK4Poleiiiiii.uses_vcc, 1
	.set _Z6lookupPKiPKdS0_PiS0_S2_PK6WindowPK4Poleiiiiii.uses_flat_scratch, 0
	.set _Z6lookupPKiPKdS0_PiS0_S2_PK6WindowPK4Poleiiiiii.has_dyn_sized_stack, 0
	.set _Z6lookupPKiPKdS0_PiS0_S2_PK6WindowPK4Poleiiiiii.has_recursion, 0
	.set _Z6lookupPKiPKdS0_PiS0_S2_PK6WindowPK4Poleiiiiii.has_indirect_call, 0
	.section	.AMDGPU.csdata,"",@progbits
; Kernel info:
; codeLenInByte = 16156
; TotalNumSgprs: 46
; NumVgprs: 112
; ScratchSize: 0
; MemoryBound: 1
; FloatMode: 240
; IeeeMode: 1
; LDSByteSize: 131072 bytes/workgroup (compile time only)
; SGPRBlocks: 0
; VGPRBlocks: 6
; NumSGPRsForWavesPerEU: 46
; NumVGPRsForWavesPerEU: 112
; NamedBarCnt: 0
; Occupancy: 9
; WaveLimiterHint : 1
; COMPUTE_PGM_RSRC2:SCRATCH_EN: 0
; COMPUTE_PGM_RSRC2:USER_SGPR: 4
; COMPUTE_PGM_RSRC2:TRAP_HANDLER: 0
; COMPUTE_PGM_RSRC2:TGID_X_EN: 1
; COMPUTE_PGM_RSRC2:TGID_Y_EN: 0
; COMPUTE_PGM_RSRC2:TGID_Z_EN: 0
; COMPUTE_PGM_RSRC2:TIDIG_COMP_CNT: 2
	.text
	.p2alignl 7, 3214868480
	.fill 96, 4, 3214868480
	.section	.AMDGPU.gpr_maximums,"",@progbits
	.set amdgpu.max_num_vgpr, 0
	.set amdgpu.max_num_agpr, 0
	.set amdgpu.max_num_sgpr, 0
	.text
	.type	__const._Z14fast_nuclear_W9RSComplex.an,@object ; @__const._Z14fast_nuclear_W9RSComplex.an
	.section	.rodata,"a",@progbits
	.p2align	4, 0x0
__const._Z14fast_nuclear_W9RSComplex.an:
	.quad	0x3fd1a75da77b03ac              ; double 0.27584019999999998
	.quad	0x3fccbed740c4156e              ; double 0.224574
	.quad	0x3fc467b51aff5fc7              ; double 0.1594149
	.quad	0x3fb94228ef6278f1              ; double 0.09866577
	.quad	0x3fab42d0e001ddd1              ; double 0.053244140000000002
	.quad	0x3f99a74553c72771              ; double 0.025052149999999999
	.quad	0x3f850c5aac48f3ba              ; double 0.01027747
	.quad	0x3f6e1d7984f391aa              ; double 0.003676164
	.quad	0x3f52c8be8f0b3a0a              ; double 0.0011464940000000001
	.quad	0x3f346e6a1e8a624d              ; double 3.1175700000000002E-4
	.size	__const._Z14fast_nuclear_W9RSComplex.an, 80

	.type	__const._Z14fast_nuclear_W9RSComplex.neg_1n,@object ; @__const._Z14fast_nuclear_W9RSComplex.neg_1n
	.p2align	4, 0x0
__const._Z14fast_nuclear_W9RSComplex.neg_1n:
	.quad	0xbff0000000000000              ; double -1
	.quad	0x3ff0000000000000              ; double 1
	.quad	0xbff0000000000000              ; double -1
	.quad	0x3ff0000000000000              ; double 1
	;; [unrolled: 2-line block ×5, first 2 shown]
	.size	__const._Z14fast_nuclear_W9RSComplex.neg_1n, 80

	.type	__const._Z14fast_nuclear_W9RSComplex.denominator_left,@object ; @__const._Z14fast_nuclear_W9RSComplex.denominator_left
	.p2align	4, 0x0
__const._Z14fast_nuclear_W9RSComplex.denominator_left:
	.quad	0x4023bd3cbc48f10b              ; double 9.8696040000000007
	.quad	0x4043bd3cddd6e04c              ; double 39.47842
	.quad	0x405634e4649906cd              ; double 88.826440000000005
	.quad	0x4063bd3d07c84b5e              ; double 157.91370000000001
	.quad	0x406ed7aee631f8a1              ; double 246.74010000000001
	.quad	0x407634e48e8a71de              ; double 355.30579999999998
	.quad	0x407e39c504816f00              ; double 483.61059999999998
	.quad	0x4083bd3cd35a8588              ; double 631.65470000000005
	.quad	0x4088fb810624dd2f              ; double 799.43799999999999
	.quad	0x408ed7aee631f8a1              ; double 986.96040000000005
	.size	__const._Z14fast_nuclear_W9RSComplex.denominator_left, 80

	.type	__hip_cuid_2bb34d366b55ce89,@object ; @__hip_cuid_2bb34d366b55ce89
	.section	.bss,"aw",@nobits
	.globl	__hip_cuid_2bb34d366b55ce89
__hip_cuid_2bb34d366b55ce89:
	.byte	0                               ; 0x0
	.size	__hip_cuid_2bb34d366b55ce89, 1

	.ident	"AMD clang version 22.0.0git (https://github.com/RadeonOpenCompute/llvm-project roc-7.2.4 26084 f58b06dce1f9c15707c5f808fd002e18c2accf7e)"
	.section	".note.GNU-stack","",@progbits
	.addrsig
	.addrsig_sym __hip_cuid_2bb34d366b55ce89
	.amdgpu_metadata
---
amdhsa.kernels:
  - .args:
      - .actual_access:  read_only
        .address_space:  global
        .offset:         0
        .size:           8
        .value_kind:     global_buffer
      - .actual_access:  read_only
        .address_space:  global
        .offset:         8
        .size:           8
        .value_kind:     global_buffer
      - .actual_access:  read_only
        .address_space:  global
        .offset:         16
        .size:           8
        .value_kind:     global_buffer
      - .actual_access:  write_only
        .address_space:  global
        .offset:         24
        .size:           8
        .value_kind:     global_buffer
      - .actual_access:  read_only
        .address_space:  global
        .offset:         32
        .size:           8
        .value_kind:     global_buffer
      - .actual_access:  read_only
        .address_space:  global
        .offset:         40
        .size:           8
        .value_kind:     global_buffer
      - .actual_access:  read_only
        .address_space:  global
        .offset:         48
        .size:           8
        .value_kind:     global_buffer
      - .actual_access:  read_only
        .address_space:  global
        .offset:         56
        .size:           8
        .value_kind:     global_buffer
      - .offset:         64
        .size:           4
        .value_kind:     by_value
      - .offset:         68
        .size:           4
        .value_kind:     by_value
      - .offset:         72
        .size:           4
        .value_kind:     by_value
      - .offset:         76
        .size:           4
        .value_kind:     by_value
      - .offset:         80
        .size:           4
        .value_kind:     by_value
      - .offset:         84
        .size:           4
        .value_kind:     by_value
      - .offset:         88
        .size:           4
        .value_kind:     hidden_block_count_x
      - .offset:         92
        .size:           4
        .value_kind:     hidden_block_count_y
      - .offset:         96
        .size:           4
        .value_kind:     hidden_block_count_z
      - .offset:         100
        .size:           2
        .value_kind:     hidden_group_size_x
      - .offset:         102
        .size:           2
        .value_kind:     hidden_group_size_y
      - .offset:         104
        .size:           2
        .value_kind:     hidden_group_size_z
      - .offset:         106
        .size:           2
        .value_kind:     hidden_remainder_x
      - .offset:         108
        .size:           2
        .value_kind:     hidden_remainder_y
      - .offset:         110
        .size:           2
        .value_kind:     hidden_remainder_z
      - .offset:         128
        .size:           8
        .value_kind:     hidden_global_offset_x
      - .offset:         136
        .size:           8
        .value_kind:     hidden_global_offset_y
      - .offset:         144
        .size:           8
        .value_kind:     hidden_global_offset_z
      - .offset:         152
        .size:           2
        .value_kind:     hidden_grid_dims
    .group_segment_fixed_size: 131072
    .kernarg_segment_align: 8
    .kernarg_segment_size: 344
    .language:       OpenCL C
    .language_version:
      - 2
      - 0
    .max_flat_workgroup_size: 1024
    .name:           _Z6lookupPKiPKdS0_PiS0_S2_PK6WindowPK4Poleiiiiii
    .private_segment_fixed_size: 0
    .sgpr_count:     46
    .sgpr_spill_count: 0
    .symbol:         _Z6lookupPKiPKdS0_PiS0_S2_PK6WindowPK4Poleiiiiii.kd
    .uniform_work_group_size: 1
    .uses_dynamic_stack: false
    .vgpr_count:     112
    .vgpr_spill_count: 0
    .wavefront_size: 32
amdhsa.target:   amdgcn-amd-amdhsa--gfx1250
amdhsa.version:
  - 1
  - 2
...

	.end_amdgpu_metadata
